;; amdgpu-corpus repo=ROCm/rocFFT kind=compiled arch=gfx1030 opt=O3
	.text
	.amdgcn_target "amdgcn-amd-amdhsa--gfx1030"
	.amdhsa_code_object_version 6
	.protected	bluestein_single_fwd_len1428_dim1_half_op_CI_CI ; -- Begin function bluestein_single_fwd_len1428_dim1_half_op_CI_CI
	.globl	bluestein_single_fwd_len1428_dim1_half_op_CI_CI
	.p2align	8
	.type	bluestein_single_fwd_len1428_dim1_half_op_CI_CI,@function
bluestein_single_fwd_len1428_dim1_half_op_CI_CI: ; @bluestein_single_fwd_len1428_dim1_half_op_CI_CI
; %bb.0:
	s_load_dwordx4 s[0:3], s[4:5], 0x28
	v_mul_u32_u24_e32 v1, 0x227, v0
	v_mov_b32_e32 v17, 0
	v_lshrrev_b32_e32 v1, 16, v1
	v_add_nc_u32_e32 v16, s6, v1
	s_waitcnt lgkmcnt(0)
	v_cmp_gt_u64_e32 vcc_lo, s[0:1], v[16:17]
	s_and_saveexec_b32 s0, vcc_lo
	s_cbranch_execz .LBB0_23
; %bb.1:
	s_clause 0x1
	s_load_dwordx2 s[8:9], s[4:5], 0x0
	s_load_dwordx2 s[10:11], s[4:5], 0x38
	v_mul_lo_u16 v1, 0x77, v1
	v_sub_nc_u16 v0, v0, v1
	v_and_b32_e32 v39, 0xffff, v0
	v_cmp_gt_u16_e32 vcc_lo, 0x54, v0
	v_lshlrev_b32_e32 v38, 2, v39
	s_and_saveexec_b32 s1, vcc_lo
	s_cbranch_execz .LBB0_3
; %bb.2:
	s_load_dwordx2 s[6:7], s[4:5], 0x18
	v_add_nc_u32_e32 v37, 0x600, v38
	v_add_nc_u32_e32 v40, 0x800, v38
	;; [unrolled: 1-line block ×3, first 2 shown]
	s_waitcnt lgkmcnt(0)
	s_load_dwordx4 s[12:15], s[6:7], 0x0
	s_waitcnt lgkmcnt(0)
	v_mad_u64_u32 v[0:1], null, s14, v16, 0
	v_mad_u64_u32 v[2:3], null, s12, v39, 0
	s_mul_i32 s6, s13, 0x150
	s_mul_hi_u32 s7, s12, 0x150
	v_mad_u64_u32 v[4:5], null, s15, v16, v[1:2]
	v_mad_u64_u32 v[5:6], null, s13, v39, v[3:4]
	v_mov_b32_e32 v1, v4
	v_add_co_u32 v6, s0, s8, v38
	v_add_co_ci_u32_e64 v7, null, s9, 0, s0
	v_lshlrev_b64 v[0:1], 2, v[0:1]
	v_mov_b32_e32 v3, v5
	v_add_co_u32 v0, s0, s2, v0
	v_lshlrev_b64 v[2:3], 2, v[2:3]
	v_add_co_ci_u32_e64 v1, s0, s3, v1, s0
	s_mul_i32 s2, s12, 0x150
	s_add_i32 s3, s7, s6
	v_add_co_u32 v0, s0, v0, v2
	v_add_co_ci_u32_e64 v1, s0, v1, v3, s0
	v_add_co_u32 v2, s0, v0, s2
	v_add_co_ci_u32_e64 v3, s0, s3, v1, s0
	global_load_dword v8, v[0:1], off
	v_add_co_u32 v0, s0, v2, s2
	v_add_co_ci_u32_e64 v1, s0, s3, v3, s0
	s_clause 0x6
	global_load_dword v9, v38, s[8:9]
	global_load_dword v10, v38, s[8:9] offset:336
	global_load_dword v11, v38, s[8:9] offset:672
	;; [unrolled: 1-line block ×6, first 2 shown]
	s_clause 0x1
	global_load_dword v17, v[2:3], off
	global_load_dword v18, v[0:1], off
	v_add_co_u32 v0, s0, v0, s2
	v_add_co_ci_u32_e64 v1, s0, s3, v1, s0
	v_add_co_u32 v2, s0, 0x800, v6
	v_add_co_ci_u32_e64 v3, s0, 0, v7, s0
	global_load_dword v19, v[0:1], off
	v_add_co_u32 v0, s0, v0, s2
	v_add_co_ci_u32_e64 v1, s0, s3, v1, s0
	global_load_dword v20, v[2:3], off offset:304
	v_add_co_u32 v4, s0, v0, s2
	v_add_co_ci_u32_e64 v5, s0, s3, v1, s0
	global_load_dword v21, v[0:1], off
	v_add_co_u32 v0, s0, v4, s2
	v_add_co_ci_u32_e64 v1, s0, s3, v5, s0
	global_load_dword v22, v[4:5], off
	v_add_co_u32 v4, s0, v0, s2
	v_add_co_ci_u32_e64 v5, s0, s3, v1, s0
	global_load_dword v23, v[0:1], off
	v_add_co_u32 v0, s0, v4, s2
	v_add_co_ci_u32_e64 v1, s0, s3, v5, s0
	global_load_dword v24, v[4:5], off
	v_add_co_u32 v4, s0, v0, s2
	v_add_co_ci_u32_e64 v5, s0, s3, v1, s0
	v_add_co_u32 v6, s0, 0x1000, v6
	global_load_dword v25, v[2:3], off offset:640
	global_load_dword v26, v[0:1], off
	global_load_dword v27, v[4:5], off
	v_add_co_ci_u32_e64 v7, s0, 0, v7, s0
	v_add_co_u32 v0, s0, v4, s2
	v_add_co_ci_u32_e64 v1, s0, s3, v5, s0
	s_clause 0x3
	global_load_dword v4, v[2:3], off offset:976
	global_load_dword v5, v[2:3], off offset:1312
	;; [unrolled: 1-line block ×4, first 2 shown]
	global_load_dword v30, v[0:1], off
	v_add_co_u32 v0, s0, v0, s2
	v_add_co_ci_u32_e64 v1, s0, s3, v1, s0
	global_load_dword v31, v[6:7], off offset:272
	v_add_co_u32 v2, s0, v0, s2
	v_add_co_ci_u32_e64 v3, s0, s3, v1, s0
	global_load_dword v32, v[0:1], off
	v_add_co_u32 v0, s0, v2, s2
	v_add_co_ci_u32_e64 v1, s0, s3, v3, s0
	global_load_dword v33, v[2:3], off
	v_add_co_u32 v2, s0, v0, s2
	v_add_co_ci_u32_e64 v3, s0, s3, v1, s0
	global_load_dword v34, v[0:1], off
	v_add_co_u32 v0, s0, v2, s2
	v_add_co_ci_u32_e64 v1, s0, s3, v3, s0
	global_load_dword v35, v[2:3], off
	v_add_co_u32 v2, s0, v0, s2
	v_add_co_ci_u32_e64 v3, s0, s3, v1, s0
	global_load_dword v36, v[6:7], off offset:608
	global_load_dword v0, v[0:1], off
	global_load_dword v1, v[2:3], off
	s_clause 0x1
	global_load_dword v2, v[6:7], off offset:944
	global_load_dword v3, v[6:7], off offset:1280
	v_add_nc_u32_e32 v7, 0x400, v38
	s_waitcnt vmcnt(33)
	v_lshrrev_b32_e32 v6, 16, v8
	s_waitcnt vmcnt(32)
	v_mul_f16_sdwa v41, v9, v8 dst_sel:DWORD dst_unused:UNUSED_PAD src0_sel:WORD_1 src1_sel:DWORD
	s_waitcnt vmcnt(25)
	v_lshrrev_b32_e32 v43, 16, v17
	v_mul_f16_sdwa v42, v9, v6 dst_sel:DWORD dst_unused:UNUSED_PAD src0_sel:WORD_1 src1_sel:DWORD
	v_mul_f16_sdwa v45, v10, v17 dst_sel:DWORD dst_unused:UNUSED_PAD src0_sel:WORD_1 src1_sel:DWORD
	v_fma_f16 v6, v9, v6, -v41
	v_fmac_f16_e32 v42, v9, v8
	v_mul_f16_sdwa v8, v10, v43 dst_sel:DWORD dst_unused:UNUSED_PAD src0_sel:WORD_1 src1_sel:DWORD
	s_waitcnt vmcnt(24)
	v_lshrrev_b32_e32 v9, 16, v18
	v_fma_f16 v41, v10, v43, -v45
	v_mul_f16_sdwa v43, v11, v18 dst_sel:DWORD dst_unused:UNUSED_PAD src0_sel:WORD_1 src1_sel:DWORD
	v_pack_b32_f16 v6, v42, v6
	v_fmac_f16_e32 v8, v10, v17
	v_mul_f16_sdwa v10, v11, v9 dst_sel:DWORD dst_unused:UNUSED_PAD src0_sel:WORD_1 src1_sel:DWORD
	s_waitcnt vmcnt(23)
	v_lshrrev_b32_e32 v17, 16, v19
	v_mul_f16_sdwa v42, v12, v19 dst_sel:DWORD dst_unused:UNUSED_PAD src0_sel:WORD_1 src1_sel:DWORD
	v_fma_f16 v9, v11, v9, -v43
	v_pack_b32_f16 v8, v8, v41
	v_fmac_f16_e32 v10, v11, v18
	v_mul_f16_sdwa v11, v12, v17 dst_sel:DWORD dst_unused:UNUSED_PAD src0_sel:WORD_1 src1_sel:DWORD
	s_waitcnt vmcnt(21)
	v_lshrrev_b32_e32 v18, 16, v21
	v_fma_f16 v17, v12, v17, -v42
	v_mul_f16_sdwa v41, v13, v21 dst_sel:DWORD dst_unused:UNUSED_PAD src0_sel:WORD_1 src1_sel:DWORD
	ds_write2_b32 v38, v6, v8 offset1:84
	v_pack_b32_f16 v6, v10, v9
	v_fmac_f16_e32 v11, v12, v19
	v_mul_f16_sdwa v8, v13, v18 dst_sel:DWORD dst_unused:UNUSED_PAD src0_sel:WORD_1 src1_sel:DWORD
	s_waitcnt vmcnt(20)
	v_lshrrev_b32_e32 v9, 16, v22
	v_mul_f16_sdwa v10, v14, v22 dst_sel:DWORD dst_unused:UNUSED_PAD src0_sel:WORD_1 src1_sel:DWORD
	v_fma_f16 v12, v13, v18, -v41
	v_pack_b32_f16 v11, v11, v17
	v_fmac_f16_e32 v8, v13, v21
	v_mul_f16_sdwa v13, v14, v9 dst_sel:DWORD dst_unused:UNUSED_PAD src0_sel:WORD_1 src1_sel:DWORD
	v_fma_f16 v9, v14, v9, -v10
	s_waitcnt vmcnt(19)
	v_lshrrev_b32_e32 v10, 16, v23
	v_mul_f16_sdwa v17, v15, v23 dst_sel:DWORD dst_unused:UNUSED_PAD src0_sel:WORD_1 src1_sel:DWORD
	ds_write2_b32 v38, v6, v11 offset0:168 offset1:252
	v_pack_b32_f16 v6, v8, v12
	v_fmac_f16_e32 v13, v14, v22
	v_mul_f16_sdwa v8, v15, v10 dst_sel:DWORD dst_unused:UNUSED_PAD src0_sel:WORD_1 src1_sel:DWORD
	s_waitcnt vmcnt(18)
	v_lshrrev_b32_e32 v11, 16, v24
	v_mul_f16_sdwa v12, v20, v24 dst_sel:DWORD dst_unused:UNUSED_PAD src0_sel:WORD_1 src1_sel:DWORD
	v_fma_f16 v10, v15, v10, -v17
	v_pack_b32_f16 v9, v13, v9
	v_fmac_f16_e32 v8, v15, v23
	v_mul_f16_sdwa v13, v20, v11 dst_sel:DWORD dst_unused:UNUSED_PAD src0_sel:WORD_1 src1_sel:DWORD
	v_fma_f16 v11, v20, v11, -v12
	s_waitcnt vmcnt(16)
	v_lshrrev_b32_e32 v12, 16, v26
	v_mul_f16_sdwa v14, v25, v26 dst_sel:DWORD dst_unused:UNUSED_PAD src0_sel:WORD_1 src1_sel:DWORD
	ds_write2_b32 v7, v6, v9 offset0:80 offset1:164
	v_pack_b32_f16 v6, v8, v10
	v_fmac_f16_e32 v13, v20, v24
	v_mul_f16_sdwa v7, v25, v12 dst_sel:DWORD dst_unused:UNUSED_PAD src0_sel:WORD_1 src1_sel:DWORD
	s_waitcnt vmcnt(15)
	v_lshrrev_b32_e32 v8, 16, v27
	s_waitcnt vmcnt(14)
	v_mul_f16_sdwa v9, v4, v27 dst_sel:DWORD dst_unused:UNUSED_PAD src0_sel:WORD_1 src1_sel:DWORD
	v_fma_f16 v10, v25, v12, -v14
	v_pack_b32_f16 v11, v13, v11
	v_fmac_f16_e32 v7, v25, v26
	v_mul_f16_sdwa v12, v4, v8 dst_sel:DWORD dst_unused:UNUSED_PAD src0_sel:WORD_1 src1_sel:DWORD
	v_fma_f16 v8, v4, v8, -v9
	s_waitcnt vmcnt(10)
	v_lshrrev_b32_e32 v9, 16, v30
	v_mul_f16_sdwa v13, v5, v30 dst_sel:DWORD dst_unused:UNUSED_PAD src0_sel:WORD_1 src1_sel:DWORD
	ds_write2_b32 v37, v6, v11 offset0:120 offset1:204
	v_pack_b32_f16 v6, v7, v10
	v_fmac_f16_e32 v12, v4, v27
	v_mul_f16_sdwa v4, v5, v9 dst_sel:DWORD dst_unused:UNUSED_PAD src0_sel:WORD_1 src1_sel:DWORD
	s_waitcnt vmcnt(8)
	v_lshrrev_b32_e32 v7, 16, v32
	v_fma_f16 v9, v5, v9, -v13
	v_mul_f16_sdwa v10, v28, v32 dst_sel:DWORD dst_unused:UNUSED_PAD src0_sel:WORD_1 src1_sel:DWORD
	v_pack_b32_f16 v8, v12, v8
	v_fmac_f16_e32 v4, v5, v30
	v_mul_f16_sdwa v5, v28, v7 dst_sel:DWORD dst_unused:UNUSED_PAD src0_sel:WORD_1 src1_sel:DWORD
	s_waitcnt vmcnt(7)
	v_lshrrev_b32_e32 v11, 16, v33
	v_fma_f16 v7, v28, v7, -v10
	v_mul_f16_sdwa v10, v29, v33 dst_sel:DWORD dst_unused:UNUSED_PAD src0_sel:WORD_1 src1_sel:DWORD
	s_waitcnt vmcnt(6)
	v_lshrrev_b32_e32 v12, 16, v34
	v_fmac_f16_e32 v5, v28, v32
	v_pack_b32_f16 v4, v4, v9
	v_mul_f16_sdwa v9, v29, v11 dst_sel:DWORD dst_unused:UNUSED_PAD src0_sel:WORD_1 src1_sel:DWORD
	v_fma_f16 v10, v29, v11, -v10
	v_mul_f16_sdwa v11, v31, v34 dst_sel:DWORD dst_unused:UNUSED_PAD src0_sel:WORD_1 src1_sel:DWORD
	v_pack_b32_f16 v5, v5, v7
	v_mul_f16_sdwa v7, v31, v12 dst_sel:DWORD dst_unused:UNUSED_PAD src0_sel:WORD_1 src1_sel:DWORD
	v_fmac_f16_e32 v9, v29, v33
	s_waitcnt vmcnt(5)
	v_lshrrev_b32_e32 v13, 16, v35
	v_fma_f16 v11, v31, v12, -v11
	s_waitcnt vmcnt(4)
	v_mul_f16_sdwa v12, v36, v35 dst_sel:DWORD dst_unused:UNUSED_PAD src0_sel:WORD_1 src1_sel:DWORD
	v_fmac_f16_e32 v7, v31, v34
	s_waitcnt vmcnt(3)
	v_lshrrev_b32_e32 v14, 16, v0
	s_waitcnt vmcnt(2)
	v_lshrrev_b32_e32 v15, 16, v1
	v_pack_b32_f16 v9, v9, v10
	v_mul_f16_sdwa v10, v36, v13 dst_sel:DWORD dst_unused:UNUSED_PAD src0_sel:WORD_1 src1_sel:DWORD
	v_fma_f16 v12, v36, v13, -v12
	s_waitcnt vmcnt(1)
	v_mul_f16_sdwa v13, v2, v0 dst_sel:DWORD dst_unused:UNUSED_PAD src0_sel:WORD_1 src1_sel:DWORD
	v_pack_b32_f16 v7, v7, v11
	v_mul_f16_sdwa v11, v2, v14 dst_sel:DWORD dst_unused:UNUSED_PAD src0_sel:WORD_1 src1_sel:DWORD
	s_waitcnt vmcnt(0)
	v_mul_f16_sdwa v17, v3, v15 dst_sel:DWORD dst_unused:UNUSED_PAD src0_sel:WORD_1 src1_sel:DWORD
	v_mul_f16_sdwa v18, v3, v1 dst_sel:DWORD dst_unused:UNUSED_PAD src0_sel:WORD_1 src1_sel:DWORD
	v_fmac_f16_e32 v10, v36, v35
	v_fma_f16 v13, v2, v14, -v13
	v_fmac_f16_e32 v11, v2, v0
	v_fmac_f16_e32 v17, v3, v1
	v_fma_f16 v0, v3, v15, -v18
	v_add_nc_u32_e32 v1, 0xe00, v38
	v_pack_b32_f16 v2, v10, v12
	v_pack_b32_f16 v3, v11, v13
	v_add_nc_u32_e32 v10, 0x1000, v38
	v_pack_b32_f16 v0, v17, v0
	ds_write2_b32 v40, v6, v8 offset0:160 offset1:244
	ds_write2_b32 v44, v4, v5 offset0:72 offset1:156
	;; [unrolled: 1-line block ×4, first 2 shown]
	ds_write_b32 v38, v0 offset:5376
.LBB0_3:
	s_or_b32 exec_lo, exec_lo, s1
	s_clause 0x1
	s_load_dwordx2 s[0:1], s[4:5], 0x20
	s_load_dwordx2 s[2:3], s[4:5], 0x8
	v_mov_b32_e32 v4, 0
	s_waitcnt lgkmcnt(0)
	s_barrier
	buffer_gl0_inv
                                        ; implicit-def: $vgpr8
                                        ; implicit-def: $vgpr1
                                        ; implicit-def: $vgpr3
                                        ; implicit-def: $vgpr7
                                        ; implicit-def: $vgpr11
                                        ; implicit-def: $vgpr13
                                        ; implicit-def: $vgpr15
                                        ; implicit-def: $vgpr19
                                        ; implicit-def: $vgpr61
                                        ; kill: def $vgpr0 killed $sgpr0 killed $exec
	s_and_saveexec_b32 s4, vcc_lo
	s_cbranch_execz .LBB0_5
; %bb.4:
	v_add_nc_u32_e32 v0, 0x400, v38
	v_add_nc_u32_e32 v1, 0x600, v38
	;; [unrolled: 1-line block ×3, first 2 shown]
	ds_read2_b32 v[4:5], v38 offset1:84
	ds_read2_b32 v[18:19], v38 offset0:168 offset1:252
	v_add_nc_u32_e32 v3, 0xe00, v38
	ds_read2_b32 v[14:15], v0 offset0:80 offset1:164
	v_add_nc_u32_e32 v0, 0xc00, v38
	v_add_nc_u32_e32 v8, 0x1000, v38
	ds_read2_b32 v[12:13], v1 offset0:120 offset1:204
	ds_read2_b32 v[10:11], v2 offset0:160 offset1:244
	;; [unrolled: 1-line block ×5, first 2 shown]
	ds_read_b32 v8, v38 offset:5376
	s_waitcnt lgkmcnt(7)
	v_alignbit_b32 v61, v18, v18, 16
.LBB0_5:
	s_or_b32 exec_lo, exec_lo, s4
	s_waitcnt lgkmcnt(0)
	v_pk_add_f16 v20, v5, v8 neg_lo:[0,1] neg_hi:[0,1]
	v_pk_add_f16 v21, v8, v5
	v_mov_b32_e32 v9, 0xbb29
	v_mov_b32_e32 v116, 0xbbf7
	;; [unrolled: 1-line block ×3, first 2 shown]
	v_mul_f16_e32 v48, 0xbb29, v20
	v_lshrrev_b32_e32 v74, 16, v21
	v_mul_f16_sdwa v37, v20, v9 dst_sel:DWORD dst_unused:UNUSED_PAD src0_sel:WORD_1 src1_sel:DWORD
	v_mul_f16_sdwa v52, v20, v116 dst_sel:DWORD dst_unused:UNUSED_PAD src0_sel:WORD_1 src1_sel:DWORD
	v_mul_f16_e32 v60, 0xbbf7, v20
	v_mov_b32_e32 v97, 0xbbb2
	v_fma_f16 v23, v74, 0x3722, -v48
	v_fmamk_f16 v22, v21, 0x3722, v37
	v_fmamk_f16 v24, v21, 0x2de8, v52
	v_mul_f16_sdwa v26, v20, v102 dst_sel:DWORD dst_unused:UNUSED_PAD src0_sel:WORD_1 src1_sel:DWORD
	v_mul_f16_e32 v33, 0xb964, v20
	v_add_f16_sdwa v27, v23, v4 dst_sel:DWORD dst_unused:UNUSED_PAD src0_sel:DWORD src1_sel:WORD_1
	v_add_f16_e32 v25, v22, v4
	v_add_f16_e32 v28, v24, v4
	v_pk_add_f16 v22, v1, v61 op_sel:[1,0] op_sel_hi:[0,1]
	v_pk_add_f16 v23, v61, v1 op_sel:[1,0] op_sel_hi:[0,1] neg_lo:[0,1] neg_hi:[0,1]
	v_mov_b32_e32 v133, 0xb964
	v_fma_f16 v24, v74, 0x2de8, -v60
	v_mul_f16_sdwa v72, v20, v97 dst_sel:DWORD dst_unused:UNUSED_PAD src0_sel:WORD_1 src1_sel:DWORD
	v_fmamk_f16 v17, v21, 0x3b76, v26
	v_fma_f16 v18, v74, 0x39e9, -v33
	v_lshrrev_b32_e32 v76, 16, v22
	v_mul_f16_sdwa v30, v23, v133 dst_sel:DWORD dst_unused:UNUSED_PAD src0_sel:WORD_1 src1_sel:DWORD
	v_add_f16_sdwa v29, v24, v4 dst_sel:DWORD dst_unused:UNUSED_PAD src0_sel:DWORD src1_sel:WORD_1
	v_fmamk_f16 v24, v21, 0xb461, v72
	v_mul_f16_e32 v40, 0xbbf7, v23
	v_mov_b32_e32 v138, 0xba62
	v_add_f16_e32 v17, v17, v4
	v_add_f16_sdwa v18, v18, v4 dst_sel:DWORD dst_unused:UNUSED_PAD src0_sel:DWORD src1_sel:WORD_1
	v_fmamk_f16 v32, v76, 0x39e9, v30
	v_add_f16_e32 v34, v24, v4
	v_fma_f16 v24, v22, 0x2de8, -v40
	v_mul_f16_sdwa v51, v23, v138 dst_sel:DWORD dst_unused:UNUSED_PAD src0_sel:WORD_1 src1_sel:DWORD
	v_mov_b32_e32 v124, 0xb1e1
	v_add_f16_e32 v17, v32, v17
	v_mul_f16_e32 v54, 0xba62, v23
	v_add_f16_e32 v18, v24, v18
	v_mov_b32_e32 v24, 0x3836
	v_fmamk_f16 v32, v76, 0xb8d2, v51
	v_mul_f16_sdwa v63, v23, v124 dst_sel:DWORD dst_unused:UNUSED_PAD src0_sel:WORD_1 src1_sel:DWORD
	v_mul_f16_e32 v82, 0xbbb2, v20
	v_fma_f16 v35, v22, 0xb8d2, -v54
	v_mul_f16_e32 v67, 0xb1e1, v23
	v_mul_f16_sdwa v79, v23, v24 dst_sel:DWORD dst_unused:UNUSED_PAD src0_sel:WORD_1 src1_sel:DWORD
	v_add_f16_e32 v32, v32, v25
	v_fmamk_f16 v25, v76, 0xbbdd, v63
	v_fma_f16 v31, v74, 0xb461, -v82
	v_add_f16_e32 v27, v35, v27
	v_fma_f16 v35, v22, 0xbbdd, -v67
	v_fmamk_f16 v36, v76, 0xbacd, v79
	v_mul_f16_e32 v92, 0x3836, v23
	v_pk_add_f16 v24, v19, v0 neg_lo:[0,1] neg_hi:[0,1]
	v_add_f16_e32 v28, v25, v28
	v_pk_add_f16 v25, v0, v19
	v_add_f16_sdwa v31, v31, v4 dst_sel:DWORD dst_unused:UNUSED_PAD src0_sel:DWORD src1_sel:WORD_1
	v_add_f16_e32 v29, v35, v29
	v_add_f16_e32 v34, v36, v34
	v_mul_f16_sdwa v35, v24, v9 dst_sel:DWORD dst_unused:UNUSED_PAD src0_sel:WORD_1 src1_sel:DWORD
	v_mov_b32_e32 v36, 0x31e1
	v_fma_f16 v41, v22, 0xbacd, -v92
	v_lshrrev_b32_e32 v85, 16, v25
	v_mul_f16_e32 v47, 0xba62, v24
	v_fmamk_f16 v42, v25, 0x3722, v35
	v_mul_f16_sdwa v55, v24, v36 dst_sel:DWORD dst_unused:UNUSED_PAD src0_sel:WORD_1 src1_sel:DWORD
	v_add_f16_e32 v36, v41, v31
	v_mul_f16_e32 v64, 0x31e1, v24
	v_fma_f16 v31, v85, 0xb8d2, -v47
	v_mov_b32_e32 v142, 0x3bb2
	v_mov_b32_e32 v131, 0x3964
	v_add_f16_e32 v17, v42, v17
	v_fmamk_f16 v41, v25, 0xbbdd, v55
	v_fma_f16 v42, v85, 0xbbdd, -v64
	v_add_f16_e32 v18, v31, v18
	v_mul_f16_sdwa v73, v24, v142 dst_sel:DWORD dst_unused:UNUSED_PAD src0_sel:WORD_1 src1_sel:DWORD
	v_mul_f16_sdwa v93, v24, v131 dst_sel:DWORD dst_unused:UNUSED_PAD src0_sel:WORD_1 src1_sel:DWORD
	v_pk_add_f16 v31, v14, v3 neg_lo:[0,1] neg_hi:[0,1]
	v_add_f16_e32 v41, v41, v32
	v_add_f16_e32 v27, v42, v27
	v_mul_f16_e32 v80, 0x3bb2, v24
	v_mul_f16_e32 v105, 0x3964, v24
	v_fmamk_f16 v42, v25, 0xb461, v73
	v_fmamk_f16 v44, v25, 0x39e9, v93
	v_pk_add_f16 v32, v3, v14
	v_mul_f16_sdwa v50, v31, v116 dst_sel:DWORD dst_unused:UNUSED_PAD src0_sel:WORD_1 src1_sel:DWORD
	v_fma_f16 v43, v85, 0xb461, -v80
	v_fma_f16 v45, v85, 0x39e9, -v105
	v_add_f16_e32 v28, v42, v28
	v_add_f16_e32 v42, v44, v34
	v_fmamk_f16 v34, v32, 0x2de8, v50
	v_lshrrev_b32_e32 v99, 16, v32
	v_mul_f16_e32 v58, 0xb1e1, v31
	v_mul_f16_e32 v75, 0x3bb2, v31
	v_add_f16_e32 v29, v43, v29
	v_add_f16_e32 v43, v45, v36
	v_mov_b32_e32 v36, 0x35c8
	v_mul_f16_sdwa v59, v31, v142 dst_sel:DWORD dst_unused:UNUSED_PAD src0_sel:WORD_1 src1_sel:DWORD
	v_add_f16_e32 v17, v34, v17
	v_fma_f16 v34, v99, 0xbbdd, -v58
	v_fma_f16 v44, v99, 0xb461, -v75
	v_mul_f16_e32 v89, 0x35c8, v31
	v_mul_f16_sdwa v78, v31, v36 dst_sel:DWORD dst_unused:UNUSED_PAD src0_sel:WORD_1 src1_sel:DWORD
	v_fmamk_f16 v36, v32, 0xb461, v59
	v_add_f16_e32 v18, v34, v18
	v_add_f16_e32 v27, v44, v27
	v_fma_f16 v44, v99, 0x3b76, -v89
	v_mul_f16_sdwa v106, v31, v9 dst_sel:DWORD dst_unused:UNUSED_PAD src0_sel:WORD_1 src1_sel:DWORD
	v_pk_add_f16 v34, v15, v2 neg_lo:[0,1] neg_hi:[0,1]
	v_add_f16_e32 v41, v36, v41
	v_pk_add_f16 v36, v2, v15
	v_add_f16_e32 v29, v44, v29
	v_fmamk_f16 v44, v32, 0x3722, v106
	v_mul_f16_sdwa v57, v34, v97 dst_sel:DWORD dst_unused:UNUSED_PAD src0_sel:WORD_1 src1_sel:DWORD
	v_mul_f16_sdwa v66, v34, v131 dst_sel:DWORD dst_unused:UNUSED_PAD src0_sel:WORD_1 src1_sel:DWORD
	v_fmamk_f16 v45, v32, 0x3b76, v78
	v_mul_f16_e32 v123, 0xbb29, v31
	v_add_f16_e32 v42, v44, v42
	v_fmamk_f16 v44, v36, 0xb461, v57
	v_lshrrev_b32_e32 v104, 16, v36
	v_mul_f16_sdwa v88, v34, v9 dst_sel:DWORD dst_unused:UNUSED_PAD src0_sel:WORD_1 src1_sel:DWORD
	v_mul_f16_e32 v101, 0xbb29, v34
	v_add_f16_e32 v28, v45, v28
	v_add_f16_e32 v9, v44, v17
	v_fmamk_f16 v17, v36, 0x39e9, v66
	v_fma_f16 v45, v99, 0x3722, -v123
	v_mul_f16_e32 v129, 0xb1e1, v34
	v_pk_add_f16 v46, v12, v7 neg_lo:[0,1] neg_hi:[0,1]
	v_mul_f16_e32 v83, 0x3964, v34
	v_add_f16_e32 v17, v17, v41
	v_fma_f16 v41, v104, 0x3722, -v101
	v_add_f16_e32 v43, v45, v43
	v_pk_add_f16 v49, v7, v12
	v_mul_f16_sdwa v65, v46, v138 dst_sel:DWORD dst_unused:UNUSED_PAD src0_sel:WORD_1 src1_sel:DWORD
	v_mul_f16_e32 v62, 0x3836, v34
	v_add_f16_e32 v29, v41, v29
	v_fma_f16 v41, v104, 0xbbdd, -v129
	v_fma_f16 v44, v104, 0x39e9, -v83
	v_mul_f16_sdwa v121, v34, v124 dst_sel:DWORD dst_unused:UNUSED_PAD src0_sel:WORD_1 src1_sel:DWORD
	v_mul_f16_sdwa v77, v46, v102 dst_sel:DWORD dst_unused:UNUSED_PAD src0_sel:WORD_1 src1_sel:DWORD
	v_fma_f16 v45, v104, 0xbacd, -v62
	v_add_f16_e32 v41, v41, v43
	v_fmamk_f16 v43, v49, 0xb8d2, v65
	v_add_f16_e32 v27, v44, v27
	v_fmamk_f16 v44, v36, 0xbbdd, v121
	v_lshrrev_b32_e32 v113, 16, v49
	v_mul_f16_e32 v69, 0x3bb2, v46
	v_add_f16_e32 v9, v43, v9
	v_fmamk_f16 v43, v49, 0x3b76, v77
	v_mul_f16_e32 v109, 0xb836, v46
	v_mov_b32_e32 v145, 0x3bf7
	v_add_f16_e32 v18, v45, v18
	v_add_f16_e32 v42, v44, v42
	v_fma_f16 v44, v113, 0xb461, -v69
	v_mul_f16_e32 v95, 0xb5c8, v46
	v_add_f16_e32 v17, v43, v17
	v_fma_f16 v43, v113, 0xbacd, -v109
	v_pk_add_f16 v53, v13, v6 neg_lo:[0,1] neg_hi:[0,1]
	v_mul_f16_sdwa v130, v46, v145 dst_sel:DWORD dst_unused:UNUSED_PAD src0_sel:WORD_1 src1_sel:DWORD
	v_pk_add_f16 v56, v6, v13
	v_mov_b32_e32 v143, 0xb836
	v_add_f16_e32 v18, v44, v18
	v_fma_f16 v44, v113, 0x3b76, -v95
	v_mul_f16_e32 v132, 0x3bf7, v46
	v_add_f16_e32 v29, v43, v29
	v_fmamk_f16 v43, v49, 0x2de8, v130
	v_lshrrev_b32_e32 v126, 16, v56
	v_mul_f16_e32 v81, 0x3b29, v53
	v_fmamk_f16 v45, v36, 0x3722, v88
	v_mul_f16_sdwa v103, v46, v143 dst_sel:DWORD dst_unused:UNUSED_PAD src0_sel:WORD_1 src1_sel:DWORD
	v_add_f16_e32 v27, v44, v27
	v_fma_f16 v44, v113, 0x2de8, -v132
	v_add_f16_e32 v42, v43, v42
	v_mul_f16_sdwa v84, v53, v116 dst_sel:DWORD dst_unused:UNUSED_PAD src0_sel:WORD_1 src1_sel:DWORD
	v_fma_f16 v43, v126, 0x3722, -v81
	v_add_f16_e32 v28, v45, v28
	v_fmamk_f16 v45, v49, 0xbacd, v103
	v_mul_f16_sdwa v71, v53, v143 dst_sel:DWORD dst_unused:UNUSED_PAD src0_sel:WORD_1 src1_sel:DWORD
	v_add_f16_e32 v41, v44, v41
	v_fmamk_f16 v44, v56, 0x2de8, v84
	v_add_f16_e32 v43, v43, v18
	v_pk_mul_f16 v18, 0x3b7639e9, v21
	v_add_f16_e32 v28, v45, v28
	v_fmamk_f16 v45, v56, 0xbacd, v71
	v_mul_f16_e32 v90, 0xbbf7, v53
	v_mov_b32_e32 v144, 0x3a62
	v_add_f16_e32 v17, v44, v17
	v_pk_mul_f16 v44, 0xbbf7b964, v23
	v_pk_fma_f16 v86, 0xb964b5c8, v20, v18 op_sel:[0,0,1] op_sel_hi:[1,1,0]
	v_add_f16_e32 v9, v45, v9
	v_fma_f16 v45, v126, 0x2de8, -v90
	v_mul_f16_sdwa v125, v53, v144 dst_sel:DWORD dst_unused:UNUSED_PAD src0_sel:WORD_1 src1_sel:DWORD
	v_pk_fma_f16 v87, 0x2de839e9, v22, v44
	v_add_f16_sdwa v68, v86, v4 dst_sel:DWORD dst_unused:UNUSED_PAD src0_sel:WORD_1 src1_sel:DWORD
	v_pk_mul_f16 v114, 0x3722b8d2, v25
	v_add_f16_e32 v27, v45, v27
	v_fmamk_f16 v45, v56, 0xb8d2, v125
	v_mul_f16_e32 v128, 0x3a62, v53
	v_add_f16_sdwa v70, v87, v68 dst_sel:DWORD dst_unused:UNUSED_PAD src0_sel:WORD_1 src1_sel:DWORD
	v_pk_fma_f16 v94, 0xba62bb29, v24, v114 op_sel:[0,0,1] op_sel_hi:[1,1,0]
	v_pk_mul_f16 v115, 0x2de8bbdd, v32
	v_add_f16_e32 v28, v45, v28
	v_fma_f16 v45, v126, 0xb8d2, -v128
	v_mul_f16_sdwa v135, v53, v102 dst_sel:DWORD dst_unused:UNUSED_PAD src0_sel:WORD_1 src1_sel:DWORD
	v_pk_add_f16 v68, v10, v11 neg_lo:[0,1] neg_hi:[0,1]
	v_add_f16_sdwa v98, v94, v70 dst_sel:DWORD dst_unused:UNUSED_PAD src0_sel:WORD_1 src1_sel:DWORD
	v_pk_fma_f16 v96, 0xb1e1bbf7, v31, v115 op_sel:[0,0,1] op_sel_hi:[1,1,0]
	v_pk_mul_f16 v117, 0xb461bacd, v36
	v_add_f16_e32 v29, v45, v29
	v_fmamk_f16 v45, v56, 0x3b76, v135
	v_mul_f16_e32 v139, 0xb5c8, v53
	v_pk_add_f16 v70, v11, v10
	v_mul_f16_sdwa v91, v68, v124 dst_sel:DWORD dst_unused:UNUSED_PAD src0_sel:WORD_1 src1_sel:DWORD
	v_add_f16_sdwa v100, v96, v98 dst_sel:DWORD dst_unused:UNUSED_PAD src0_sel:WORD_1 src1_sel:DWORD
	v_pk_fma_f16 v98, 0x3836bbb2, v34, v117 op_sel:[0,0,1] op_sel_hi:[1,1,0]
	v_pk_mul_f16 v118, 0xb8d2b461, v49
	v_mul_f16_sdwa v108, v68, v143 dst_sel:DWORD dst_unused:UNUSED_PAD src0_sel:WORD_1 src1_sel:DWORD
	v_pk_fma_f16 v111, 0xb964b5c8, v20, v18 op_sel:[0,0,1] op_sel_hi:[1,1,0] neg_lo:[0,1,0] neg_hi:[0,1,0]
	v_fma_f16 v107, v126, 0x3b76, -v139
	v_add_f16_e32 v146, v45, v42
	v_fmamk_f16 v42, v70, 0xbbdd, v91
	v_add_f16_sdwa v45, v98, v100 dst_sel:DWORD dst_unused:UNUSED_PAD src0_sel:WORD_1 src1_sel:DWORD
	v_pk_fma_f16 v100, 0x3bb2ba62, v46, v118 op_sel:[0,0,1] op_sel_hi:[1,1,0]
	v_pk_mul_f16 v120, 0xbacd3722, v56
	v_fmamk_f16 v18, v70, 0xbacd, v108
	v_pk_fma_f16 v112, 0x2de839e9, v22, v44 neg_lo:[0,0,1] neg_hi:[0,0,1]
	v_add_f16_sdwa v44, v111, v4 dst_sel:DWORD dst_unused:UNUSED_PAD src0_sel:DWORD src1_sel:WORD_1
	v_add_f16_e32 v41, v107, v41
	v_add_f16_e32 v42, v42, v9
	v_add_f16_sdwa v9, v100, v45 dst_sel:DWORD dst_unused:UNUSED_PAD src0_sel:WORD_1 src1_sel:DWORD
	v_pk_fma_f16 v107, 0x3b29b836, v53, v120 op_sel:[0,0,1] op_sel_hi:[1,1,0]
	v_pk_mul_f16 v147, 0xbbdd3b76, v70
	v_add_f16_e32 v17, v18, v17
	v_pk_fma_f16 v114, 0xba62bb29, v24, v114 op_sel:[0,0,1] op_sel_hi:[1,1,0] neg_lo:[0,1,0] neg_hi:[0,1,0]
	v_add_f16_e32 v18, v112, v44
	v_add_f16_sdwa v9, v107, v9 dst_sel:DWORD dst_unused:UNUSED_PAD src0_sel:WORD_1 src1_sel:DWORD
	v_pk_fma_f16 v110, 0x35c8b1e1, v68, v147 op_sel:[0,0,1] op_sel_hi:[1,1,0]
	v_lshrrev_b32_e32 v137, 16, v70
	v_mul_f16_e32 v122, 0x35c8, v68
	v_pk_fma_f16 v115, 0xb1e1bbf7, v31, v115 op_sel:[0,0,1] op_sel_hi:[1,1,0] neg_lo:[0,1,0] neg_hi:[0,1,0]
	v_add_f16_e32 v44, v114, v18
	v_add_f16_sdwa v18, v110, v9 dst_sel:DWORD dst_unused:UNUSED_PAD src0_sel:WORD_1 src1_sel:DWORD
	v_pk_fma_f16 v117, 0x3836bbb2, v34, v117 op_sel:[0,0,1] op_sel_hi:[1,1,0] neg_lo:[0,1,0] neg_hi:[0,1,0]
	v_fma_f16 v9, v137, 0x3b76, -v122
	v_mul_f16_e32 v127, 0xb836, v68
	v_add_f16_e32 v44, v115, v44
	v_pk_fma_f16 v119, 0x3bb2ba62, v46, v118 op_sel:[0,0,1] op_sel_hi:[1,1,0] neg_lo:[0,1,0] neg_hi:[0,1,0]
	v_mul_f16_sdwa v134, v68, v131 dst_sel:DWORD dst_unused:UNUSED_PAD src0_sel:WORD_1 src1_sel:DWORD
	v_add_f16_e32 v43, v9, v43
	v_fma_f16 v45, v137, 0xbacd, -v127
	v_add_f16_e32 v9, v117, v44
	v_mul_f16_e32 v136, 0x3964, v68
	v_mul_f16_e32 v141, 0xba62, v68
	v_pk_fma_f16 v118, 0x3b29b836, v53, v120 op_sel:[0,0,1] op_sel_hi:[1,1,0] neg_lo:[0,1,0] neg_hi:[0,1,0]
	v_mul_f16_sdwa v140, v68, v138 dst_sel:DWORD dst_unused:UNUSED_PAD src0_sel:WORD_1 src1_sel:DWORD
	v_add_f16_e32 v9, v119, v9
	v_add_f16_e32 v45, v45, v27
	v_fmamk_f16 v27, v70, 0x39e9, v134
	v_fma_f16 v44, v137, 0x39e9, -v136
	v_fma_f16 v148, v137, 0xb8d2, -v141
	v_pk_fma_f16 v120, 0x35c8b1e1, v68, v147 op_sel:[0,0,1] op_sel_hi:[1,1,0] neg_lo:[0,1,0] neg_hi:[0,1,0]
	v_add_f16_e32 v9, v118, v9
	v_fmamk_f16 v147, v70, 0xb8d2, v140
	v_add_f16_e32 v27, v27, v28
	v_add_f16_e32 v29, v44, v29
	;; [unrolled: 1-line block ×5, first 2 shown]
	v_mul_lo_u16 v41, v39, 17
	s_barrier
	buffer_gl0_inv
	s_and_saveexec_b32 s4, vcc_lo
	s_cbranch_execz .LBB0_7
; %bb.6:
	v_mul_f16_e32 v146, 0xb8d2, v74
	v_mul_f16_e32 v147, 0xb461, v22
	v_mul_f16_sdwa v138, v20, v138 dst_sel:DWORD dst_unused:UNUSED_PAD src0_sel:WORD_1 src1_sel:DWORD
	v_mul_f16_e32 v148, 0x3b76, v85
	v_mul_f16_sdwa v142, v23, v142 dst_sel:DWORD dst_unused:UNUSED_PAD src0_sel:WORD_1 src1_sel:DWORD
	v_fmamk_f16 v150, v20, 0x3a62, v146
	v_fmamk_f16 v153, v23, 0xbbb2, v147
	v_fmamk_f16 v152, v21, 0xb8d2, v138
	v_mul_f16_e32 v149, 0xbacd, v99
	v_mul_f16_sdwa v151, v24, v102 dst_sel:DWORD dst_unused:UNUSED_PAD src0_sel:WORD_1 src1_sel:DWORD
	v_add_f16_sdwa v150, v150, v4 dst_sel:DWORD dst_unused:UNUSED_PAD src0_sel:DWORD src1_sel:WORD_1
	v_fmamk_f16 v155, v76, 0xb461, v142
	v_add_f16_e32 v152, v152, v4
	v_fmamk_f16 v156, v24, 0x35c8, v148
	v_mul_f16_sdwa v154, v31, v143 dst_sel:DWORD dst_unused:UNUSED_PAD src0_sel:WORD_1 src1_sel:DWORD
	v_add_f16_e32 v150, v153, v150
	v_mul_f16_e32 v153, 0x2de8, v104
	v_fmamk_f16 v157, v25, 0x3b76, v151
	v_add_f16_e32 v152, v155, v152
	v_fmamk_f16 v155, v31, 0x3836, v149
	v_add_f16_e32 v150, v156, v150
	v_mul_f16_sdwa v145, v34, v145 dst_sel:DWORD dst_unused:UNUSED_PAD src0_sel:WORD_1 src1_sel:DWORD
	v_fmamk_f16 v156, v32, 0xbacd, v154
	v_add_f16_e32 v152, v157, v152
	v_fmamk_f16 v157, v34, 0xbbf7, v153
	v_add_f16_e32 v150, v155, v150
	v_mul_f16_e32 v155, 0x39e9, v113
	v_fmamk_f16 v158, v36, 0x2de8, v145
	v_add_f16_e32 v152, v156, v152
	v_mul_f16_sdwa v156, v46, v133 dst_sel:DWORD dst_unused:UNUSED_PAD src0_sel:WORD_1 src1_sel:DWORD
	v_add_f16_e32 v133, v157, v150
	v_fmamk_f16 v150, v46, 0x3964, v155
	v_mul_f16_e32 v157, 0xbbdd, v126
	v_add_f16_e32 v152, v158, v152
	v_fmamk_f16 v158, v49, 0x39e9, v156
	v_mul_f16_sdwa v160, v53, v124 dst_sel:DWORD dst_unused:UNUSED_PAD src0_sel:WORD_1 src1_sel:DWORD
	v_add_f16_e32 v133, v150, v133
	v_fmamk_f16 v150, v53, 0x31e1, v157
	v_mul_f16_e32 v159, 0xbacd, v74
	v_add_f16_e32 v152, v158, v152
	v_mul_f16_e32 v162, 0x3722, v137
	v_mul_f16_e32 v161, 0x3722, v22
	v_add_f16_e32 v133, v150, v133
	v_fmamk_f16 v150, v56, 0xbbdd, v160
	v_fmamk_f16 v158, v20, 0x3836, v159
	v_mov_b32_e32 v165, 0x3b29
	v_mul_f16_sdwa v143, v20, v143 dst_sel:DWORD dst_unused:UNUSED_PAD src0_sel:WORD_1 src1_sel:DWORD
	v_fmamk_f16 v163, v23, 0xbb29, v161
	v_add_f16_e32 v150, v150, v152
	v_fmamk_f16 v152, v68, 0xbb29, v162
	v_add_f16_sdwa v158, v158, v4 dst_sel:DWORD dst_unused:UNUSED_PAD src0_sel:DWORD src1_sel:WORD_1
	v_mul_f16_e32 v164, 0x2de8, v85
	v_fmamk_f16 v169, v21, 0xbacd, v143
	v_mul_f16_e32 v166, 0xb8d2, v99
	v_add_f16_e32 v133, v152, v133
	v_mul_f16_sdwa v152, v68, v165 dst_sel:DWORD dst_unused:UNUSED_PAD src0_sel:WORD_1 src1_sel:DWORD
	v_mul_f16_sdwa v165, v23, v165 dst_sel:DWORD dst_unused:UNUSED_PAD src0_sel:WORD_1 src1_sel:DWORD
	v_add_f16_e32 v158, v163, v158
	v_fmamk_f16 v163, v24, 0x3bf7, v164
	v_add_f16_e32 v169, v169, v4
	v_fmamk_f16 v168, v70, 0x3722, v152
	v_fmamk_f16 v171, v76, 0x3722, v165
	v_mul_f16_sdwa v172, v24, v116 dst_sel:DWORD dst_unused:UNUSED_PAD src0_sel:WORD_1 src1_sel:DWORD
	v_add_f16_e32 v158, v163, v158
	v_fmamk_f16 v163, v31, 0xba62, v166
	v_mul_f16_e32 v167, 0x3b76, v104
	v_add_f16_e32 v116, v168, v150
	v_add_f16_e32 v150, v171, v169
	v_fmamk_f16 v168, v25, 0x2de8, v172
	v_mul_f16_sdwa v144, v31, v144 dst_sel:DWORD dst_unused:UNUSED_PAD src0_sel:WORD_1 src1_sel:DWORD
	v_add_f16_e32 v158, v163, v158
	v_fmamk_f16 v163, v34, 0x35c8, v167
	v_mul_f16_e32 v170, 0xbbdd, v113
	v_fmac_f16_e32 v159, 0xb836, v20
	v_add_f16_e32 v150, v168, v150
	v_fmamk_f16 v168, v32, 0xb8d2, v144
	v_mul_f16_sdwa v169, v34, v102 dst_sel:DWORD dst_unused:UNUSED_PAD src0_sel:WORD_1 src1_sel:DWORD
	v_add_f16_e32 v158, v163, v158
	v_fmamk_f16 v163, v46, 0x31e1, v170
	v_add_f16_sdwa v102, v159, v4 dst_sel:DWORD dst_unused:UNUSED_PAD src0_sel:DWORD src1_sel:WORD_1
	v_fmac_f16_e32 v161, 0x3b29, v23
	v_add_f16_e32 v150, v168, v150
	v_fmamk_f16 v168, v36, 0x3b76, v169
	v_mul_f16_sdwa v124, v46, v124 dst_sel:DWORD dst_unused:UNUSED_PAD src0_sel:WORD_1 src1_sel:DWORD
	v_fmac_f16_e32 v146, 0xba62, v20
	v_add_f16_e32 v158, v163, v158
	v_mul_f16_e32 v163, 0x39e9, v126
	v_add_f16_e32 v102, v161, v102
	v_fmac_f16_e32 v164, 0xbbf7, v24
	v_add_f16_e32 v150, v168, v150
	v_fmamk_f16 v168, v49, 0xbbdd, v124
	v_mul_f16_sdwa v131, v53, v131 dst_sel:DWORD dst_unused:UNUSED_PAD src0_sel:WORD_1 src1_sel:DWORD
	v_add_f16_sdwa v146, v146, v4 dst_sel:DWORD dst_unused:UNUSED_PAD src0_sel:DWORD src1_sel:WORD_1
	v_fmac_f16_e32 v147, 0x3bb2, v23
	v_fmamk_f16 v159, v53, 0xb964, v163
	v_mul_f16_e32 v161, 0xb461, v137
	v_add_f16_e32 v102, v164, v102
	v_add_f16_e32 v150, v168, v150
	v_fmamk_f16 v164, v56, 0x39e9, v131
	v_mul_f16_sdwa v97, v68, v97 dst_sel:DWORD dst_unused:UNUSED_PAD src0_sel:WORD_1 src1_sel:DWORD
	v_add_f16_e32 v146, v147, v146
	v_fmac_f16_e32 v148, 0xb5c8, v24
	v_fmac_f16_e32 v166, 0x3a62, v31
	v_add_f16_e32 v158, v159, v158
	v_fmamk_f16 v159, v68, 0x3bb2, v161
	v_fma_f16 v143, v21, 0xbacd, -v143
	v_add_f16_e32 v150, v164, v150
	v_fmamk_f16 v147, v70, 0xb461, v97
	v_add_f16_e32 v146, v148, v146
	v_fmac_f16_e32 v149, 0xb836, v31
	v_add_f16_e32 v166, v166, v102
	v_fmac_f16_e32 v167, 0xb5c8, v34
	v_add_f16_e32 v102, v159, v158
	v_add_f16_e32 v143, v143, v4
	v_fma_f16 v159, v76, 0x3722, -v165
	v_add_f16_e32 v146, v149, v146
	v_fmac_f16_e32 v153, 0x3bf7, v34
	v_add_f16_e32 v147, v147, v150
	v_mul_f16_e32 v150, 0xb461, v74
	v_fma_f16 v138, v21, 0xb8d2, -v138
	v_add_f16_e32 v158, v167, v166
	v_fmac_f16_e32 v170, 0xb1e1, v46
	v_add_f16_e32 v143, v159, v143
	v_fma_f16 v159, v25, 0x2de8, -v172
	v_add_f16_e32 v146, v153, v146
	v_mul_f16_e32 v153, 0xbacd, v22
	v_add_f16_e32 v82, v82, v150
	v_add_f16_e32 v138, v138, v4
	v_fma_f16 v142, v76, 0xb461, -v142
	v_add_f16_e32 v158, v170, v158
	v_fmac_f16_e32 v163, 0x3964, v53
	v_add_f16_e32 v143, v159, v143
	v_fma_f16 v144, v32, 0xb8d2, -v144
	v_add_f16_e32 v92, v92, v153
	v_add_f16_sdwa v82, v82, v4 dst_sel:DWORD dst_unused:UNUSED_PAD src0_sel:DWORD src1_sel:WORD_1
	v_add_f16_e32 v138, v142, v138
	v_mul_f16_e32 v142, 0x39e9, v85
	v_fma_f16 v151, v25, 0x3b76, -v151
	v_add_f16_e32 v148, v163, v158
	v_add_f16_e32 v143, v144, v143
	v_fma_f16 v144, v36, 0x3b76, -v169
	v_fmac_f16_e32 v161, 0xbbb2, v68
	v_add_f16_e32 v82, v92, v82
	v_add_f16_e32 v105, v105, v142
	v_mul_f16_e32 v142, 0x3722, v99
	v_add_f16_e32 v138, v151, v138
	v_fma_f16 v154, v32, 0xbacd, -v154
	v_add_f16_e32 v143, v144, v143
	v_add_f16_e32 v144, v161, v148
	v_alignbit_b32 v148, v4, v4, 16
	v_add_f16_e32 v82, v105, v82
	v_add_f16_e32 v123, v123, v142
	v_mul_f16_e32 v142, 0xbbdd, v104
	v_add_f16_e32 v138, v154, v138
	v_fma_f16 v145, v36, 0x2de8, -v145
	v_alignbit_b32 v61, v61, v61, 16
	v_add_f16_e32 v82, v123, v82
	v_add_f16_e32 v129, v129, v142
	v_pk_add_f16 v5, v5, v148 op_sel:[0,1] op_sel_hi:[1,0]
	v_add_f16_e32 v138, v145, v138
	v_mul_f16_e32 v145, 0x2de8, v113
	v_fma_f16 v124, v49, 0xbbdd, -v124
	v_fmac_f16_e32 v155, 0xb964, v46
	v_mul_f16_e32 v153, 0xb461, v21
	v_add_f16_e32 v82, v129, v82
	v_add_f16_e32 v132, v132, v145
	v_pk_add_f16 v5, v61, v5
	v_add_f16_e32 v124, v124, v143
	v_fma_f16 v131, v56, 0x39e9, -v131
	v_add_f16_e32 v146, v155, v146
	v_mul_f16_e32 v92, 0x39e9, v76
	v_mul_f16_e32 v105, 0xb8d2, v76
	;; [unrolled: 1-line block ×4, first 2 shown]
	v_sub_f16_e32 v72, v153, v72
	v_fma_f16 v155, v49, 0x39e9, -v156
	v_add_f16_e32 v82, v132, v82
	v_mul_f16_e32 v132, 0x3b76, v126
	v_pk_add_f16 v5, v19, v5
	v_add_f16_e32 v124, v131, v124
	v_mul_f16_e32 v131, 0x3722, v21
	v_sub_f16_e32 v76, v76, v79
	v_add_f16_e32 v72, v72, v4
	v_add_f16_e32 v138, v155, v138
	v_mul_f16_e32 v155, 0x39e9, v25
	v_add_f16_e32 v132, v139, v132
	v_pk_add_f16 v5, v14, v5
	v_mul_f16_e32 v149, 0x39e9, v74
	v_add_f16_e32 v72, v76, v72
	v_sub_f16_e32 v93, v155, v93
	v_mul_f16_e32 v155, 0x3722, v32
	v_fma_f16 v156, v56, 0xbbdd, -v160
	v_add_f16_e32 v82, v132, v82
	v_mul_f16_e32 v132, 0xb8d2, v137
	v_sub_f16_e32 v37, v131, v37
	v_pk_add_f16 v5, v15, v5
	v_fma_f16 v97, v70, 0xb461, -v97
	v_mul_f16_e32 v151, 0x2de8, v22
	v_mul_f16_e32 v145, 0xbbdd, v25
	v_add_f16_e32 v72, v93, v72
	v_sub_f16_e32 v106, v155, v106
	v_add_f16_e32 v138, v156, v138
	v_mul_f16_e32 v156, 0xbbdd, v36
	v_add_f16_e32 v132, v141, v132
	v_add_f16_e32 v37, v37, v4
	v_sub_f16_e32 v51, v105, v51
	v_add_f16_e32 v33, v33, v149
	v_pk_add_f16 v5, v12, v5
	v_mul_f16_e32 v143, 0x3b76, v21
	v_add_f16_e32 v97, v97, v124
	v_mul_f16_e32 v124, 0x3722, v74
	v_mul_f16_e32 v150, 0x2de8, v21
	;; [unrolled: 1-line block ×5, first 2 shown]
	v_add_f16_e32 v72, v106, v72
	v_sub_f16_e32 v121, v156, v121
	v_mul_f16_e32 v141, 0x2de8, v49
	v_fma_f16 v152, v70, 0x3722, -v152
	v_add_f16_e32 v82, v132, v82
	v_mul_f16_e32 v132, 0x3b76, v56
	v_add_f16_e32 v37, v51, v37
	v_sub_f16_e32 v51, v145, v55
	v_add_f16_sdwa v33, v33, v4 dst_sel:DWORD dst_unused:UNUSED_PAD src0_sel:DWORD src1_sel:WORD_1
	v_add_f16_e32 v40, v40, v151
	v_pk_add_f16 v5, v13, v5
	v_mul_f16_e32 v142, 0xbbdd, v22
	v_mul_f16_e32 v93, 0xbbdd, v99
	v_add_f16_e32 v72, v121, v72
	v_sub_f16_e32 v130, v141, v130
	v_add_f16_e32 v138, v152, v138
	v_mul_f16_e32 v152, 0x39e9, v36
	v_add_f16_e32 v60, v60, v74
	v_sub_f16_e32 v132, v132, v135
	v_mul_f16_e32 v135, 0xb8d2, v70
	v_sub_f16_e32 v52, v150, v52
	v_add_f16_e32 v48, v48, v124
	v_add_f16_e32 v37, v51, v37
	v_sub_f16_e32 v51, v155, v59
	v_add_f16_e32 v33, v40, v33
	v_add_f16_e32 v40, v47, v153
	v_sub_f16_e32 v26, v143, v26
	v_pk_add_f16 v5, v10, v5
	v_mul_f16_e32 v129, 0x3722, v25
	v_mul_f16_e32 v79, 0xbbdd, v85
	;; [unrolled: 1-line block ×6, first 2 shown]
	v_add_f16_e32 v72, v130, v72
	v_add_f16_e32 v67, v67, v142
	v_add_f16_sdwa v60, v60, v4 dst_sel:DWORD dst_unused:UNUSED_PAD src0_sel:DWORD src1_sel:WORD_1
	v_sub_f16_e32 v135, v135, v140
	v_mul_f16_e32 v140, 0x3b76, v49
	v_add_f16_e32 v52, v52, v4
	v_add_f16_sdwa v48, v48, v4 dst_sel:DWORD dst_unused:UNUSED_PAD src0_sel:DWORD src1_sel:WORD_1
	v_add_f16_e32 v37, v51, v37
	v_sub_f16_e32 v47, v152, v66
	v_add_f16_e32 v33, v40, v33
	v_add_f16_e32 v19, v58, v93
	v_add_f16_e32 v4, v26, v4
	v_sub_f16_e32 v12, v92, v30
	v_pk_add_f16 v5, v11, v5
	v_mul_f16_e32 v139, 0x2de8, v32
	v_add_f16_e32 v72, v132, v72
	v_mul_f16_e32 v132, 0xb461, v113
	v_add_f16_e32 v60, v67, v60
	v_add_f16_e32 v80, v80, v85
	;; [unrolled: 1-line block ×3, first 2 shown]
	v_mul_f16_e32 v99, 0x2de8, v56
	v_sub_f16_e32 v63, v123, v63
	v_add_f16_e32 v37, v47, v37
	v_sub_f16_e32 v40, v140, v77
	v_add_f16_e32 v14, v19, v33
	v_add_f16_e32 v19, v62, v141
	;; [unrolled: 1-line block ×3, first 2 shown]
	v_sub_f16_e32 v12, v129, v35
	v_pk_add_f16 v5, v6, v5
	v_mul_f16_e32 v121, 0xb461, v36
	v_mul_f16_e32 v130, 0x39e9, v104
	;; [unrolled: 1-line block ×3, first 2 shown]
	v_add_f16_e32 v60, v80, v60
	v_mul_f16_e32 v80, 0x3722, v126
	v_add_f16_e32 v52, v63, v52
	v_mul_f16_e32 v63, 0xbacd, v70
	v_add_f16_e32 v33, v40, v37
	v_sub_f16_e32 v15, v99, v84
	v_add_f16_e32 v14, v19, v14
	v_add_f16_e32 v19, v69, v132
	;; [unrolled: 1-line block ×3, first 2 shown]
	v_sub_f16_e32 v12, v139, v50
	v_pk_add_f16 v5, v7, v5
	v_mul_f16_e32 v142, 0xb8d2, v49
	v_add_f16_e32 v101, v101, v104
	v_mul_f16_e32 v104, 0x3b76, v137
	v_add_f16_e32 v15, v15, v33
	v_add_f16_e32 v14, v19, v14
	;; [unrolled: 1-line block ×3, first 2 shown]
	v_sub_f16_e32 v13, v63, v108
	v_add_f16_e32 v4, v12, v4
	v_sub_f16_e32 v12, v121, v57
	v_bfi_b32 v6, 0xffff, v86, v111
	v_pk_add_f16 v2, v2, v5
	v_add_f16_e32 v72, v135, v72
	v_mul_f16_e32 v135, 0xbacd, v56
	v_add_f16_e32 v14, v19, v14
	v_add_f16_e32 v10, v122, v104
	v_add_f16_e32 v11, v13, v15
	v_bfi_b32 v13, 0xffff, v87, v112
	v_add_f16_e32 v4, v12, v4
	v_sub_f16_e32 v7, v142, v65
	v_pk_add_f16 v5, v6, v148
	v_pk_add_f16 v2, v3, v2
	v_add_f16_e32 v60, v89, v60
	v_mul_f16_e32 v89, 0xbbdd, v70
	v_add_f16_e32 v10, v10, v14
	v_bfi_b32 v14, 0xffff, v94, v114
	v_add_f16_e32 v4, v7, v4
	v_sub_f16_e32 v6, v135, v71
	v_pk_add_f16 v5, v13, v5
	v_pk_add_f16 v0, v0, v2
	v_bfi_b32 v12, 0xffff, v96, v115
	v_mov_b32_e32 v2, 2
	v_add_f16_e32 v4, v6, v4
	v_sub_f16_e32 v6, v89, v91
	v_pk_add_f16 v5, v14, v5
	v_pk_mul_f16 v13, 0xbbdd, v21 op_sel_hi:[0,1]
	v_pk_add_f16 v0, v1, v0
	v_mul_f16_e32 v154, 0xb8d2, v22
	v_bfi_b32 v15, 0xffff, v98, v117
	v_add_f16_e32 v4, v6, v4
	v_lshlrev_b32_sdwa v1, v2, v41 dst_sel:DWORD dst_unused:UNUSED_PAD src0_sel:DWORD src1_sel:WORD_0
	v_pk_add_f16 v2, v12, v5
	v_pk_fma_f16 v5, 0xb1e1, v20, v13 op_sel:[0,0,1] op_sel_hi:[0,1,0] neg_lo:[0,1,0] neg_hi:[0,1,0]
	v_pk_mul_f16 v6, 0x35c8, v23 op_sel_hi:[0,1]
	v_pk_add_f16 v0, v8, v0
	v_pk_fma_f16 v8, 0xb1e1, v20, v13 op_sel:[0,0,1] op_sel_hi:[0,1,0]
	v_mul_f16_e32 v76, 0xb461, v25
	v_add_f16_e32 v54, v54, v154
	v_bfi_b32 v26, 0xffff, v100, v119
	v_pk_add_f16 v2, v15, v2
	v_pk_add_f16 v5, v5, v148
	v_pk_fma_f16 v12, 0x3b76, v22, v6 op_sel_hi:[0,1,1] neg_lo:[0,0,1] neg_hi:[0,0,1]
	v_pk_mul_f16 v13, 0xbacd, v25 op_sel_hi:[0,1]
	v_pk_add_f16 v8, v8, v148
	v_pk_fma_f16 v6, 0x3b76, v22, v6 op_sel_hi:[0,1,1]
	v_mul_f16_e32 v156, 0x3b76, v32
	v_sub_f16_e32 v73, v76, v73
	v_add_f16_e32 v48, v54, v48
	v_add_f16_e32 v54, v64, v79
	v_bfi_b32 v7, 0xffff, v107, v118
	v_pk_add_f16 v2, v26, v2
	v_pk_add_f16 v5, v12, v5
	v_pk_fma_f16 v12, 0xb836, v24, v13 op_sel:[0,0,1] op_sel_hi:[0,1,0] neg_lo:[0,1,0] neg_hi:[0,1,0]
	v_pk_mul_f16 v14, 0x39e9, v32 op_sel_hi:[0,1]
	v_pk_add_f16 v6, v6, v8
	v_pk_fma_f16 v8, 0xb836, v24, v13 op_sel:[0,0,1] op_sel_hi:[0,1,0]
	v_mul_f16_e32 v74, 0x3722, v36
	v_add_f16_e32 v52, v73, v52
	v_sub_f16_e32 v73, v156, v78
	v_add_f16_e32 v48, v54, v48
	v_add_f16_e32 v54, v75, v106
	v_bfi_b32 v3, 0xffff, v110, v120
	v_pk_add_f16 v2, v7, v2
	v_pk_add_f16 v5, v12, v5
	v_pk_fma_f16 v7, 0x3964, v31, v14 op_sel:[0,0,1] op_sel_hi:[0,1,0] neg_lo:[0,1,0] neg_hi:[0,1,0]
	v_pk_mul_f16 v12, 0xb8d2, v36 op_sel_hi:[0,1]
	v_pk_add_f16 v6, v8, v6
	v_pk_fma_f16 v8, 0x3964, v31, v14 op_sel:[0,0,1] op_sel_hi:[0,1,0]
	v_mul_f16_e32 v67, 0x3b76, v113
	v_mul_f16_e32 v85, 0xbacd, v49
	;; [unrolled: 1-line block ×3, first 2 shown]
	v_add_f16_e32 v52, v73, v52
	v_sub_f16_e32 v73, v74, v88
	v_add_f16_e32 v48, v54, v48
	v_add_f16_e32 v54, v83, v130
	v_pk_add_f16 v2, v3, v2
	v_pk_add_f16 v3, v7, v5
	v_pk_fma_f16 v5, 0xba62, v34, v12 op_sel:[0,0,1] op_sel_hi:[0,1,0] neg_lo:[0,1,0] neg_hi:[0,1,0]
	v_pk_mul_f16 v7, 0x3722, v49 op_sel_hi:[0,1]
	v_pk_add_f16 v6, v8, v6
	v_pk_fma_f16 v8, 0xba62, v34, v12 op_sel:[0,0,1] op_sel_hi:[0,1,0]
	v_mul_f16_e32 v150, 0x2de8, v126
	v_mul_f16_e32 v123, 0xb8d2, v56
	;; [unrolled: 1-line block ×3, first 2 shown]
	v_add_f16_e32 v60, v101, v60
	v_add_f16_e32 v78, v109, v113
	;; [unrolled: 1-line block ×3, first 2 shown]
	v_sub_f16_e32 v64, v85, v103
	v_add_f16_e32 v48, v54, v48
	v_add_f16_e32 v54, v95, v67
	v_pk_add_f16 v3, v5, v3
	v_pk_fma_f16 v5, 0x3b29, v46, v7 op_sel:[0,0,1] op_sel_hi:[0,1,0] neg_lo:[0,1,0] neg_hi:[0,1,0]
	v_pk_mul_f16 v12, 0xb461, v56 op_sel_hi:[0,1]
	v_pk_add_f16 v6, v8, v6
	v_pk_fma_f16 v7, 0x3b29, v46, v7 op_sel:[0,0,1] op_sel_hi:[0,1,0]
	v_mul_f16_e32 v76, 0xbacd, v137
	v_mul_f16_e32 v124, 0x39e9, v70
	;; [unrolled: 1-line block ×3, first 2 shown]
	v_add_f16_e32 v60, v78, v60
	v_add_f16_e32 v74, v128, v126
	;; [unrolled: 1-line block ×3, first 2 shown]
	v_sub_f16_e32 v64, v123, v125
	v_add_f16_e32 v48, v54, v48
	v_add_f16_e32 v54, v90, v150
	v_fmac_f16_e32 v157, 0xb1e1, v53
	v_alignbit_b32 v10, v10, v2, 16
	v_pack_b32_f16 v2, v4, v2
	v_pk_add_f16 v3, v5, v3
	v_pk_fma_f16 v4, 0xbbb2, v53, v12 op_sel:[0,0,1] op_sel_hi:[0,1,0] neg_lo:[0,1,0] neg_hi:[0,1,0]
	v_pk_mul_f16 v5, 0x2de8, v70 op_sel_hi:[0,1]
	v_pk_add_f16 v6, v7, v6
	v_pk_fma_f16 v7, 0xbbb2, v53, v12 op_sel:[0,0,1] op_sel_hi:[0,1,0]
	v_add_f16_e32 v60, v74, v60
	v_add_f16_e32 v73, v136, v137
	;; [unrolled: 1-line block ×3, first 2 shown]
	v_sub_f16_e32 v64, v124, v134
	v_add_f16_e32 v48, v54, v48
	v_add_f16_e32 v47, v127, v76
	;; [unrolled: 1-line block ×3, first 2 shown]
	v_fmac_f16_e32 v162, 0x3b29, v68
	v_pk_add_f16 v3, v4, v3
	v_pk_fma_f16 v4, 0x3bf7, v68, v5 op_sel:[0,0,1] op_sel_hi:[0,1,0] neg_lo:[0,1,0] neg_hi:[0,1,0]
	v_pk_add_f16 v6, v7, v6
	v_pk_fma_f16 v5, 0x3bf7, v68, v5 op_sel:[0,0,1] op_sel_hi:[0,1,0]
	v_add_f16_e32 v60, v73, v60
	v_add_f16_e32 v52, v64, v52
	;; [unrolled: 1-line block ×4, first 2 shown]
	v_pk_add_f16 v3, v4, v3
	v_pk_add_f16 v4, v5, v6
	v_pack_b32_f16 v8, v52, v60
	v_pack_b32_f16 v11, v11, v19
	;; [unrolled: 1-line block ×5, first 2 shown]
	ds_write2_b32 v1, v2, v10 offset0:1 offset1:2
	ds_write2_b32 v1, v11, v8 offset0:3 offset1:4
	;; [unrolled: 1-line block ×3, first 2 shown]
	ds_write2_b32 v1, v0, v13 offset1:7
	v_alignbit_b32 v0, v3, v4, 16
	v_alignbit_b32 v2, v4, v3, 16
	v_pack_b32_f16 v3, v116, v133
	v_pack_b32_f16 v4, v147, v102
	v_perm_b32 v5, v29, v27, 0x5040100
	v_perm_b32 v6, v28, v9, 0x5040100
	;; [unrolled: 1-line block ×5, first 2 shown]
	ds_write2_b32 v1, v2, v0 offset0:8 offset1:9
	ds_write2_b32 v1, v4, v3 offset0:10 offset1:11
	;; [unrolled: 1-line block ×4, first 2 shown]
	ds_write_b32 v1, v10 offset:64
.LBB0_7:
	s_or_b32 exec_lo, exec_lo, s4
	v_and_b32_e32 v1, 0xff, v39
	v_add_nc_u16 v0, v39, 0x77
	v_add_co_u32 v3, null, 0xee, v39
	v_mov_b32_e32 v6, 0xf0f1
	v_mul_lo_u16 v1, 0xf1, v1
	v_and_b32_e32 v2, 0xff, v0
	v_add_co_u32 v4, null, 0x165, v39
	v_add_co_u32 v5, null, 0x1dc, v39
	v_lshrrev_b16 v7, 12, v1
	v_mul_lo_u16 v1, 0xf1, v2
	v_mul_u32_u24_sdwa v10, v3, v6 dst_sel:DWORD dst_unused:UNUSED_PAD src0_sel:WORD_0 src1_sel:DWORD
	v_add_co_u32 v8, null, 0x253, v39
	v_mul_lo_u16 v2, v7, 17
	v_lshrrev_b16 v15, 12, v1
	v_mul_u32_u24_sdwa v11, v4, v6 dst_sel:DWORD dst_unused:UNUSED_PAD src0_sel:WORD_0 src1_sel:DWORD
	v_mul_u32_u24_sdwa v13, v5, v6 dst_sel:DWORD dst_unused:UNUSED_PAD src0_sel:WORD_0 src1_sel:DWORD
	v_lshrrev_b32_e32 v22, 20, v10
	v_sub_nc_u16 v2, v39, v2
	v_mul_u32_u24_sdwa v6, v8, v6 dst_sel:DWORD dst_unused:UNUSED_PAD src0_sel:WORD_0 src1_sel:DWORD
	v_lshrrev_b32_e32 v23, 20, v11
	v_lshrrev_b32_e32 v24, 20, v13
	v_mul_lo_u16 v11, v22, 17
	v_and_b32_e32 v21, 0xff, v2
	v_mul_lo_u16 v2, v15, 17
	v_lshrrev_b32_e32 v25, 20, v6
	v_mov_b32_e32 v12, 2
	v_sub_nc_u16 v30, v3, v11
	v_lshlrev_b32_e32 v10, 2, v21
	v_sub_nc_u16 v2, v0, v2
	v_mul_lo_u16 v3, v24, 17
	v_mul_lo_u16 v6, v25, 17
	s_load_dwordx4 s[4:7], s[0:1], 0x0
	s_waitcnt lgkmcnt(0)
	v_and_b32_e32 v26, 0xff, v2
	v_mul_lo_u16 v2, v23, 17
	s_barrier
	buffer_gl0_inv
	global_load_dword v51, v10, s[2:3]
	v_sub_nc_u16 v32, v5, v3
	v_sub_nc_u16 v31, v4, v2
	v_lshlrev_b32_e32 v2, 2, v26
	v_lshlrev_b32_sdwa v3, v12, v30 dst_sel:DWORD dst_unused:UNUSED_PAD src0_sel:DWORD src1_sel:WORD_0
	v_sub_nc_u16 v33, v8, v6
	v_lshlrev_b32_sdwa v40, v12, v39 dst_sel:DWORD dst_unused:UNUSED_PAD src0_sel:DWORD src1_sel:WORD_0
	v_lshlrev_b32_sdwa v4, v12, v31 dst_sel:DWORD dst_unused:UNUSED_PAD src0_sel:DWORD src1_sel:WORD_0
	s_clause 0x1
	global_load_dword v53, v2, s[2:3]
	global_load_dword v52, v3, s[2:3]
	v_lshlrev_b32_sdwa v2, v12, v32 dst_sel:DWORD dst_unused:UNUSED_PAD src0_sel:DWORD src1_sel:WORD_0
	v_lshlrev_b32_sdwa v3, v12, v33 dst_sel:DWORD dst_unused:UNUSED_PAD src0_sel:DWORD src1_sel:WORD_0
	s_clause 0x2
	global_load_dword v50, v4, s[2:3]
	global_load_dword v49, v2, s[2:3]
	;; [unrolled: 1-line block ×3, first 2 shown]
	v_add_nc_u32_e32 v5, 0xa00, v40
	v_add_nc_u32_e32 v8, 0x200, v40
	ds_read2_b32 v[3:4], v40 offset1:119
	v_add_nc_u32_e32 v2, 0xe00, v40
	ds_read2_b32 v[5:6], v5 offset0:74 offset1:193
	ds_read2_b32 v[10:11], v8 offset0:110 offset1:229
	v_add_nc_u32_e32 v36, 0x600, v40
	v_add_nc_u32_e32 v19, 0x1200, v40
	v_mul_lo_u16 v35, v7, 34
	ds_read2_b32 v[7:8], v2 offset0:56 offset1:175
	ds_read2_b32 v[13:14], v36 offset0:92 offset1:211
	;; [unrolled: 1-line block ×3, first 2 shown]
	v_mov_b32_e32 v34, 34
	v_mad_u16 v22, v22, 34, v30
	v_mad_u16 v23, v23, 34, v31
	;; [unrolled: 1-line block ×4, first 2 shown]
	v_and_b32_e32 v35, 0xfe, v35
	v_mul_u32_u24_sdwa v15, v15, v34 dst_sel:DWORD dst_unused:UNUSED_PAD src0_sel:WORD_0 src1_sel:DWORD
	v_lshlrev_b32_sdwa v54, v12, v22 dst_sel:DWORD dst_unused:UNUSED_PAD src0_sel:DWORD src1_sel:WORD_0
	v_lshlrev_b32_sdwa v55, v12, v23 dst_sel:DWORD dst_unused:UNUSED_PAD src0_sel:DWORD src1_sel:WORD_0
	;; [unrolled: 1-line block ×4, first 2 shown]
	v_add_lshl_u32 v58, v35, v21, 2
	s_waitcnt lgkmcnt(4)
	v_lshrrev_b32_e32 v12, 16, v5
	v_lshrrev_b32_e32 v21, 16, v6
	v_add_lshl_u32 v59, v15, v26, 2
	v_lshrrev_b32_e32 v30, 16, v3
	v_lshrrev_b32_e32 v31, 16, v4
	s_waitcnt lgkmcnt(2)
	v_lshrrev_b32_e32 v23, 16, v7
	v_lshrrev_b32_e32 v25, 16, v8
	s_waitcnt lgkmcnt(0)
	v_lshrrev_b32_e32 v32, 16, v19
	v_lshrrev_b32_e32 v33, 16, v20
	;; [unrolled: 1-line block ×6, first 2 shown]
	s_waitcnt vmcnt(0)
	s_barrier
	buffer_gl0_inv
	v_add_nc_u32_e32 v37, 0xc00, v40
	v_cmp_gt_u16_e64 s0, 0x55, v39
	v_mul_f16_sdwa v15, v12, v51 dst_sel:DWORD dst_unused:UNUSED_PAD src0_sel:DWORD src1_sel:WORD_1
	v_mul_f16_sdwa v26, v5, v51 dst_sel:DWORD dst_unused:UNUSED_PAD src0_sel:DWORD src1_sel:WORD_1
	v_fma_f16 v5, v5, v51, -v15
	v_fmac_f16_e32 v26, v12, v51
	v_mul_f16_sdwa v12, v21, v53 dst_sel:DWORD dst_unused:UNUSED_PAD src0_sel:DWORD src1_sel:WORD_1
	v_mul_f16_sdwa v15, v6, v53 dst_sel:DWORD dst_unused:UNUSED_PAD src0_sel:DWORD src1_sel:WORD_1
	;; [unrolled: 1-line block ×10, first 2 shown]
	v_fma_f16 v6, v6, v53, -v12
	v_fmac_f16_e32 v15, v21, v53
	v_sub_f16_e32 v5, v3, v5
	v_sub_f16_e32 v21, v30, v26
	v_fma_f16 v7, v7, v52, -v35
	v_fmac_f16_e32 v47, v23, v52
	v_fma_f16 v8, v8, v50, -v60
	v_fmac_f16_e32 v61, v25, v50
	;; [unrolled: 2-line block ×4, first 2 shown]
	v_fma_f16 v3, v3, 2.0, -v5
	v_fma_f16 v23, v30, 2.0, -v21
	v_sub_f16_e32 v6, v4, v6
	v_sub_f16_e32 v15, v31, v15
	;; [unrolled: 1-line block ×10, first 2 shown]
	v_pack_b32_f16 v5, v5, v21
	v_fma_f16 v4, v4, 2.0, -v6
	v_fma_f16 v19, v31, 2.0, -v15
	v_pack_b32_f16 v3, v3, v23
	v_fma_f16 v10, v10, 2.0, -v7
	v_fma_f16 v20, v22, 2.0, -v47
	;; [unrolled: 1-line block ×8, first 2 shown]
	v_pack_b32_f16 v6, v6, v15
	ds_write2_b32 v58, v3, v5 offset1:17
	v_pack_b32_f16 v3, v4, v19
	v_pack_b32_f16 v7, v7, v47
	;; [unrolled: 1-line block ×9, first 2 shown]
	ds_write2_b32 v59, v3, v6 offset1:17
	ds_write2_b32 v54, v4, v7 offset1:17
	;; [unrolled: 1-line block ×5, first 2 shown]
	s_waitcnt lgkmcnt(0)
	s_barrier
	buffer_gl0_inv
	ds_read2_b32 v[10:11], v40 offset1:204
	ds_read2_b32 v[23:24], v36 offset0:24 offset1:228
	ds_read2_b32 v[14:15], v37 offset0:48 offset1:252
	ds_read_b32 v31, v40 offset:4896
	s_and_saveexec_b32 s1, s0
	s_cbranch_execz .LBB0_9
; %bb.8:
	v_add_nc_u32_e32 v3, 0x180, v40
	v_add_nc_u32_e32 v4, 0x800, v40
	ds_read2_b32 v[8:9], v2 offset0:39 offset1:243
	ds_read2_b32 v[12:13], v3 offset0:23 offset1:227
	;; [unrolled: 1-line block ×3, first 2 shown]
	ds_read_b32 v27, v40 offset:5372
	s_waitcnt lgkmcnt(3)
	v_lshrrev_b32_e32 v32, 16, v8
	v_lshrrev_b32_e32 v28, 16, v9
	s_waitcnt lgkmcnt(2)
	v_lshrrev_b32_e32 v30, 16, v12
	v_lshrrev_b32_e32 v35, 16, v13
	;; [unrolled: 3-line block ×3, first 2 shown]
	s_waitcnt lgkmcnt(0)
	v_lshrrev_b32_e32 v29, 16, v27
.LBB0_9:
	s_or_b32 exec_lo, exec_lo, s1
	v_lshrrev_b16 v47, 13, v1
	v_mov_b32_e32 v36, 0xee
	s_waitcnt lgkmcnt(3)
	v_lshrrev_b32_e32 v61, 16, v11
	s_waitcnt lgkmcnt(2)
	v_lshrrev_b32_e32 v62, 16, v23
	;; [unrolled: 2-line block ×3, first 2 shown]
	v_mul_lo_u16 v1, v47, 34
	s_waitcnt lgkmcnt(0)
	v_lshrrev_b32_e32 v66, 16, v31
	v_lshrrev_b32_e32 v63, 16, v24
	;; [unrolled: 1-line block ×3, first 2 shown]
	v_sub_nc_u16 v0, v0, v1
	v_and_b32_e32 v1, 0xff, v39
	v_and_b32_e32 v46, 0xff, v0
	v_mul_lo_u16 v0, 0xf1, v1
	v_mad_u64_u32 v[4:5], null, v46, 24, s[2:3]
	v_lshrrev_b16 v37, 13, v0
	v_mul_lo_u16 v6, v37, 34
	s_clause 0x1
	global_load_dwordx4 v[0:3], v[4:5], off offset:68
	global_load_dwordx2 v[19:20], v[4:5], off offset:84
	v_mul_u32_u24_sdwa v37, v37, v36 dst_sel:DWORD dst_unused:UNUSED_PAD src0_sel:WORD_0 src1_sel:DWORD
	v_sub_nc_u16 v6, v39, v6
	v_and_b32_e32 v60, 0xff, v6
	v_mad_u64_u32 v[21:22], null, v60, 24, s[2:3]
	v_add_lshl_u32 v60, v37, v60, 2
	s_clause 0x1
	global_load_dwordx4 v[4:7], v[21:22], off offset:68
	global_load_dwordx2 v[21:22], v[21:22], off offset:84
	s_waitcnt vmcnt(0)
	s_barrier
	buffer_gl0_inv
	v_mul_f16_sdwa v37, v35, v0 dst_sel:DWORD dst_unused:UNUSED_PAD src0_sel:DWORD src1_sel:WORD_1
	v_mul_f16_sdwa v67, v13, v0 dst_sel:DWORD dst_unused:UNUSED_PAD src0_sel:DWORD src1_sel:WORD_1
	;; [unrolled: 1-line block ×12, first 2 shown]
	v_fma_f16 v13, v13, v0, -v37
	v_fmac_f16_e32 v67, v35, v0
	v_fma_f16 v25, v25, v1, -v68
	v_fmac_f16_e32 v69, v33, v1
	;; [unrolled: 2-line block ×6, first 2 shown]
	v_mul_f16_sdwa v28, v61, v4 dst_sel:DWORD dst_unused:UNUSED_PAD src0_sel:DWORD src1_sel:WORD_1
	v_mul_f16_sdwa v29, v11, v4 dst_sel:DWORD dst_unused:UNUSED_PAD src0_sel:DWORD src1_sel:WORD_1
	;; [unrolled: 1-line block ×12, first 2 shown]
	v_add_f16_e32 v78, v13, v27
	v_add_f16_e32 v79, v67, v77
	v_sub_f16_e32 v27, v13, v27
	v_sub_f16_e32 v67, v67, v77
	v_add_f16_e32 v13, v25, v9
	v_add_f16_e32 v77, v69, v75
	v_sub_f16_e32 v25, v25, v9
	v_sub_f16_e32 v69, v69, v75
	;; [unrolled: 4-line block ×3, first 2 shown]
	v_fma_f16 v28, v11, v4, -v28
	v_fmac_f16_e32 v29, v61, v4
	v_fma_f16 v23, v23, v5, -v32
	v_fmac_f16_e32 v33, v62, v5
	;; [unrolled: 2-line block ×6, first 2 shown]
	v_add_f16_e32 v32, v13, v78
	v_add_f16_e32 v34, v77, v79
	v_sub_f16_e32 v8, v13, v78
	v_sub_f16_e32 v9, v77, v79
	v_sub_f16_e32 v37, v78, v75
	v_sub_f16_e32 v61, v79, v80
	v_sub_f16_e32 v11, v75, v13
	v_sub_f16_e32 v13, v80, v77
	v_add_f16_e32 v62, v26, v25
	v_add_f16_e32 v63, v71, v69
	v_sub_f16_e32 v64, v26, v25
	v_sub_f16_e32 v65, v71, v69
	;; [unrolled: 1-line block ×6, first 2 shown]
	v_add_f16_e32 v71, v28, v31
	v_add_f16_e32 v73, v29, v76
	v_sub_f16_e32 v74, v28, v31
	v_add_f16_e32 v31, v23, v15
	v_add_f16_e32 v77, v33, v72
	v_sub_f16_e32 v76, v29, v76
	v_sub_f16_e32 v23, v23, v15
	;; [unrolled: 1-line block ×3, first 2 shown]
	v_add_f16_e32 v72, v24, v14
	v_add_f16_e32 v78, v35, v68
	v_sub_f16_e32 v14, v14, v24
	v_sub_f16_e32 v24, v68, v35
	v_add_f16_e32 v35, v75, v32
	v_add_f16_e32 v68, v80, v34
	v_mul_f16_e32 v32, 0x3a52, v37
	v_mul_f16_e32 v34, 0x3a52, v61
	;; [unrolled: 1-line block ×6, first 2 shown]
	v_add_f16_e32 v37, v31, v71
	v_add_f16_e32 v61, v77, v73
	;; [unrolled: 1-line block ×4, first 2 shown]
	v_sub_f16_e32 v62, v31, v71
	v_sub_f16_e32 v63, v77, v73
	;; [unrolled: 1-line block ×6, first 2 shown]
	v_add_f16_e32 v71, v14, v23
	v_add_f16_e32 v73, v24, v33
	v_sub_f16_e32 v75, v14, v23
	v_sub_f16_e32 v77, v24, v33
	v_sub_f16_e32 v79, v74, v14
	v_sub_f16_e32 v80, v33, v76
	v_add_f16_e32 v12, v12, v35
	v_add_f16_e32 v14, v30, v68
	v_fmamk_f16 v81, v11, 0x2b26, v32
	v_fma_f16 v83, v8, 0xb9e0, -v32
	v_fmamk_f16 v30, v66, 0x3574, v25
	v_fmamk_f16 v31, v70, 0x3574, v15
	v_fma_f16 v33, v66, 0xb574, -v29
	v_fma_f16 v32, v70, 0xb574, -v26
	v_add_f16_e32 v66, v72, v37
	v_add_f16_e32 v70, v78, v61
	v_sub_f16_e32 v23, v23, v74
	v_sub_f16_e32 v24, v76, v24
	v_fmamk_f16 v82, v13, 0x2b26, v34
	v_fma_f16 v84, v9, 0xb9e0, -v34
	v_add_f16_e32 v71, v71, v74
	v_add_f16_e32 v72, v73, v76
	v_mul_f16_e32 v37, 0x3a52, v64
	v_mul_f16_e32 v61, 0x3a52, v65
	;; [unrolled: 1-line block ×6, first 2 shown]
	v_fmamk_f16 v34, v35, 0xbcab, v12
	v_fmamk_f16 v35, v68, 0xbcab, v14
	v_add_f16_e32 v68, v10, v66
	v_add_f16_sdwa v77, v10, v70 dst_sel:DWORD dst_unused:UNUSED_PAD src0_sel:WORD_1 src1_sel:DWORD
	v_mul_f16_e32 v75, 0x3b00, v23
	v_mul_f16_e32 v76, 0x3b00, v80
	v_fmamk_f16 v67, v67, 0x2b26, v37
	v_fmamk_f16 v69, v69, 0x2b26, v61
	v_fma_f16 v64, v62, 0x39e0, -v64
	v_fma_f16 v65, v63, 0x39e0, -v65
	v_fmamk_f16 v86, v79, 0x3574, v73
	v_fmamk_f16 v87, v24, 0x3574, v74
	v_fma_f16 v73, v23, 0x3b00, -v73
	v_fma_f16 v74, v80, 0x3b00, -v74
	;; [unrolled: 4-line block ×3, first 2 shown]
	v_fma_f16 v75, v79, 0xb574, -v75
	v_fma_f16 v76, v24, 0xb574, -v76
	v_fmac_f16_e32 v86, 0x370e, v71
	v_fmac_f16_e32 v87, 0x370e, v72
	;; [unrolled: 1-line block ×4, first 2 shown]
	v_add_f16_e32 v67, v67, v66
	v_add_f16_e32 v69, v69, v70
	;; [unrolled: 1-line block ×4, first 2 shown]
	v_fmac_f16_e32 v75, 0x370e, v71
	v_fmac_f16_e32 v76, 0x370e, v72
	v_add_f16_e32 v66, v78, v66
	v_add_f16_e32 v71, v85, v70
	v_fmac_f16_e32 v30, 0x370e, v27
	v_fmac_f16_e32 v31, 0x370e, v28
	v_fmac_f16_e32 v33, 0x370e, v27
	v_fmac_f16_e32 v32, 0x370e, v28
	v_add_f16_e32 v10, v81, v34
	v_add_f16_e32 v61, v82, v35
	;; [unrolled: 1-line block ×5, first 2 shown]
	v_sub_f16_e32 v72, v69, v86
	v_sub_f16_e32 v79, v64, v74
	v_add_f16_e32 v80, v73, v65
	v_add_f16_e32 v64, v74, v64
	v_sub_f16_e32 v65, v65, v73
	v_pack_b32_f16 v68, v68, v77
	v_add_f16_e32 v77, v76, v66
	v_sub_f16_e32 v78, v71, v75
	v_sub_f16_e32 v66, v66, v76
	v_add_f16_e32 v71, v75, v71
	v_sub_f16_e32 v67, v67, v87
	v_add_f16_e32 v69, v86, v69
	;; [unrolled: 2-line block ×3, first 2 shown]
	v_sub_f16_e32 v24, v10, v31
	v_pack_b32_f16 v70, v70, v72
	v_pack_b32_f16 v65, v64, v65
	v_add_f16_e32 v64, v30, v61
	v_pack_b32_f16 v72, v77, v78
	v_pack_b32_f16 v73, v79, v80
	;; [unrolled: 1-line block ×4, first 2 shown]
	ds_write2_b32 v60, v68, v70 offset1:34
	ds_write2_b32 v60, v72, v73 offset0:68 offset1:102
	ds_write2_b32 v60, v65, v66 offset0:136 offset1:170
	ds_write_b32 v60, v67 offset:816
	s_and_saveexec_b32 s1, s0
	s_cbranch_execz .LBB0_11
; %bb.10:
	v_mul_f16_e32 v13, 0x2b26, v13
	v_mul_f16_e32 v9, 0x39e0, v9
	;; [unrolled: 1-line block ×6, first 2 shown]
	v_sub_f16_e32 v9, v9, v13
	v_sub_f16_e32 v13, v29, v25
	;; [unrolled: 1-line block ×4, first 2 shown]
	v_mul_u32_u24_sdwa v26, v47, v36 dst_sel:DWORD dst_unused:UNUSED_PAD src0_sel:WORD_0 src1_sel:DWORD
	v_add_f16_e32 v9, v9, v35
	v_add_f16_e32 v11, v27, v13
	;; [unrolled: 1-line block ×4, first 2 shown]
	v_sub_f16_e32 v27, v61, v30
	v_add_f16_e32 v10, v31, v10
	v_sub_f16_e32 v15, v9, v11
	v_add_f16_e32 v9, v11, v9
	v_add_f16_e32 v25, v13, v8
	v_sub_f16_e32 v11, v62, v33
	v_add_f16_e32 v28, v32, v37
	v_sub_f16_e32 v8, v8, v13
	v_add_lshl_u32 v13, v26, v46, 2
	v_perm_b32 v12, v14, v12, 0x5040100
	v_pack_b32_f16 v10, v10, v27
	v_pack_b32_f16 v11, v28, v11
	;; [unrolled: 1-line block ×4, first 2 shown]
	v_perm_b32 v14, v63, v23, 0x5040100
	v_perm_b32 v15, v64, v24, 0x5040100
	ds_write2_b32 v13, v12, v10 offset1:34
	ds_write2_b32 v13, v11, v8 offset0:68 offset1:102
	ds_write2_b32 v13, v9, v14 offset0:136 offset1:170
	ds_write_b32 v13, v15 offset:816
.LBB0_11:
	s_or_b32 exec_lo, exec_lo, s1
	v_mad_u64_u32 v[8:9], null, v39, 20, s[2:3]
	s_waitcnt lgkmcnt(0)
	s_barrier
	buffer_gl0_inv
	v_add_nc_u32_e32 v37, 0x200, v40
	v_add_nc_u32_e32 v71, 0x600, v40
	;; [unrolled: 1-line block ×3, first 2 shown]
	v_add_co_u32 v25, s1, 0x94c, v8
	s_clause 0x1
	global_load_dwordx4 v[12:15], v[8:9], off offset:884
	global_load_dword v62, v[8:9], off offset:900
	v_add_co_ci_u32_e64 v26, s1, 0, v9, s1
	v_add_nc_u32_e32 v79, 0xe00, v40
	v_add_nc_u32_e32 v80, 0x1200, v40
	s_clause 0x1
	global_load_dwordx4 v[8:11], v[25:26], off offset:884
	global_load_dword v61, v[25:26], off offset:900
	ds_read2_b32 v[35:36], v40 offset1:119
	ds_read2_b32 v[25:26], v37 offset0:110 offset1:229
	ds_read2_b32 v[27:28], v71 offset0:92 offset1:211
	;; [unrolled: 1-line block ×5, first 2 shown]
	s_waitcnt lgkmcnt(4)
	v_lshrrev_b32_e32 v65, 16, v25
	s_waitcnt lgkmcnt(3)
	v_lshrrev_b32_e32 v66, 16, v27
	;; [unrolled: 2-line block ×5, first 2 shown]
	v_lshrrev_b32_e32 v72, 16, v26
	v_lshrrev_b32_e32 v73, 16, v28
	;; [unrolled: 1-line block ×7, first 2 shown]
	s_waitcnt vmcnt(3)
	v_mul_f16_sdwa v78, v65, v12 dst_sel:DWORD dst_unused:UNUSED_PAD src0_sel:DWORD src1_sel:WORD_1
	v_mul_f16_sdwa v82, v25, v12 dst_sel:DWORD dst_unused:UNUSED_PAD src0_sel:DWORD src1_sel:WORD_1
	;; [unrolled: 1-line block ×8, first 2 shown]
	s_waitcnt vmcnt(2)
	v_mul_f16_sdwa v89, v70, v62 dst_sel:DWORD dst_unused:UNUSED_PAD src0_sel:DWORD src1_sel:WORD_1
	v_mul_f16_sdwa v90, v33, v62 dst_sel:DWORD dst_unused:UNUSED_PAD src0_sel:DWORD src1_sel:WORD_1
	v_fma_f16 v78, v25, v12, -v78
	v_fmac_f16_e32 v82, v65, v12
	v_fma_f16 v25, v27, v13, -v83
	v_fmac_f16_e32 v84, v66, v13
	;; [unrolled: 2-line block ×5, first 2 shown]
	s_waitcnt vmcnt(1)
	v_mul_f16_sdwa v33, v72, v8 dst_sel:DWORD dst_unused:UNUSED_PAD src0_sel:DWORD src1_sel:WORD_1
	v_mul_f16_sdwa v70, v26, v8 dst_sel:DWORD dst_unused:UNUSED_PAD src0_sel:DWORD src1_sel:WORD_1
	;; [unrolled: 1-line block ×6, first 2 shown]
	s_waitcnt vmcnt(0)
	v_mul_f16_sdwa v87, v76, v61 dst_sel:DWORD dst_unused:UNUSED_PAD src0_sel:DWORD src1_sel:WORD_1
	v_mul_f16_sdwa v89, v34, v61 dst_sel:DWORD dst_unused:UNUSED_PAD src0_sel:DWORD src1_sel:WORD_1
	;; [unrolled: 1-line block ×4, first 2 shown]
	v_fma_f16 v91, v26, v8, -v33
	v_fmac_f16_e32 v70, v72, v8
	v_fma_f16 v26, v28, v9, -v65
	v_fma_f16 v28, v30, v10, -v67
	v_fmac_f16_e32 v68, v74, v10
	v_fma_f16 v30, v32, v11, -v83
	v_fma_f16 v32, v34, v61, -v87
	v_fmac_f16_e32 v89, v76, v61
	v_add_f16_e32 v72, v84, v88
	v_add_f16_e32 v74, v27, v31
	;; [unrolled: 1-line block ×3, first 2 shown]
	v_fmac_f16_e32 v66, v73, v9
	v_fmac_f16_e32 v85, v75, v11
	v_add_f16_e32 v33, v35, v25
	v_add_f16_e32 v34, v25, v29
	v_sub_f16_e32 v65, v84, v88
	v_add_f16_e32 v67, v69, v84
	v_add_f16_e32 v73, v78, v27
	v_sub_f16_e32 v75, v86, v90
	v_add_f16_e32 v76, v82, v86
	v_fmac_f16_e32 v69, -0.5, v72
	v_fmac_f16_e32 v78, -0.5, v74
	v_add_f16_e32 v72, v26, v30
	v_add_f16_e32 v84, v28, v32
	v_sub_f16_e32 v86, v68, v89
	v_add_f16_e32 v87, v70, v68
	v_add_f16_e32 v68, v68, v89
	v_sub_f16_e32 v27, v27, v31
	v_fmac_f16_e32 v82, -0.5, v83
	v_sub_f16_e32 v25, v25, v29
	v_add_f16_e32 v29, v33, v29
	v_fma_f16 v34, -0.5, v34, v35
	v_add_f16_e32 v33, v67, v88
	v_add_f16_e32 v31, v73, v31
	;; [unrolled: 1-line block ×4, first 2 shown]
	v_sub_f16_e32 v73, v66, v85
	v_add_f16_e32 v74, v81, v66
	v_add_f16_e32 v83, v91, v28
	v_sub_f16_e32 v88, v28, v32
	v_fmamk_f16 v93, v75, 0x3aee, v78
	v_fmac_f16_e32 v78, 0xbaee, v75
	v_fmac_f16_e32 v36, -0.5, v72
	v_fmac_f16_e32 v91, -0.5, v84
	;; [unrolled: 1-line block ×3, first 2 shown]
	v_fmamk_f16 v75, v27, 0xbaee, v82
	v_add_f16_e32 v76, v66, v85
	v_sub_f16_e32 v26, v26, v30
	v_fmamk_f16 v90, v65, 0x3aee, v34
	v_fmac_f16_e32 v34, 0xbaee, v65
	v_fmamk_f16 v92, v25, 0xbaee, v69
	v_fmac_f16_e32 v69, 0x3aee, v25
	v_fmac_f16_e32 v82, 0x3aee, v27
	v_add_f16_e32 v25, v29, v31
	v_add_f16_e32 v65, v33, v35
	v_sub_f16_e32 v28, v29, v31
	v_sub_f16_e32 v66, v33, v35
	v_add_f16_e32 v27, v67, v30
	v_add_f16_e32 v30, v74, v85
	;; [unrolled: 1-line block ×4, first 2 shown]
	v_mul_f16_e32 v72, -0.5, v78
	v_fmamk_f16 v84, v73, 0x3aee, v36
	v_fmac_f16_e32 v36, 0xbaee, v73
	v_fmamk_f16 v73, v86, 0x3aee, v91
	v_fmac_f16_e32 v91, 0xbaee, v86
	v_fmamk_f16 v86, v88, 0xbaee, v70
	v_mul_f16_e32 v35, 0x3aee, v75
	v_fmac_f16_e32 v70, 0x3aee, v88
	v_fmac_f16_e32 v81, -0.5, v76
	v_mul_f16_e32 v74, 0xbaee, v93
	v_mul_f16_e32 v83, -0.5, v82
	v_add_f16_e32 v29, v27, v31
	v_add_f16_e32 v68, v30, v33
	v_fmac_f16_e32 v72, 0x3aee, v82
	v_mul_f16_e32 v82, 0x3aee, v86
	v_mul_f16_e32 v89, 0xbaee, v73
	v_fmac_f16_e32 v35, 0.5, v93
	v_mul_f16_e32 v88, -0.5, v91
	v_mul_f16_e32 v93, -0.5, v70
	v_fmamk_f16 v85, v26, 0xbaee, v81
	v_sub_f16_e32 v32, v27, v31
	v_sub_f16_e32 v67, v30, v33
	v_pack_b32_f16 v30, v25, v65
	v_fmac_f16_e32 v74, 0.5, v75
	v_pack_b32_f16 v31, v29, v68
	v_fmac_f16_e32 v82, 0.5, v73
	v_fmac_f16_e32 v89, 0.5, v86
	v_fmac_f16_e32 v81, 0x3aee, v26
	v_fmac_f16_e32 v83, 0xbaee, v78
	;; [unrolled: 1-line block ×4, first 2 shown]
	v_add_f16_e32 v26, v90, v35
	v_add_f16_e32 v78, v92, v74
	ds_write2_b32 v40, v30, v31 offset1:119
	v_add_f16_e32 v30, v84, v82
	v_add_f16_e32 v73, v85, v89
	;; [unrolled: 1-line block ×4, first 2 shown]
	v_sub_f16_e32 v34, v34, v72
	v_add_f16_e32 v31, v36, v88
	v_add_f16_e32 v72, v81, v93
	v_sub_f16_e32 v33, v90, v35
	v_sub_f16_e32 v75, v92, v74
	;; [unrolled: 1-line block ×7, first 2 shown]
	v_pack_b32_f16 v87, v28, v66
	v_pack_b32_f16 v94, v32, v67
	v_pack_b32_f16 v81, v26, v78
	v_pack_b32_f16 v85, v30, v73
	v_pack_b32_f16 v82, v27, v76
	v_pack_b32_f16 v86, v31, v72
	v_pack_b32_f16 v83, v33, v75
	v_pack_b32_f16 v88, v35, v70
	v_pack_b32_f16 v84, v34, v74
	v_pack_b32_f16 v89, v36, v69
	ds_write2_b32 v77, v87, v94 offset0:74 offset1:193
	ds_write2_b32 v37, v81, v85 offset0:110 offset1:229
	;; [unrolled: 1-line block ×5, first 2 shown]
	s_waitcnt lgkmcnt(0)
	s_barrier
	buffer_gl0_inv
	s_and_saveexec_b32 s2, vcc_lo
	s_cbranch_execz .LBB0_13
; %bb.12:
	v_add_co_u32 v37, s1, s8, v38
	v_add_co_ci_u32_e64 v71, null, s9, 0, s1
	v_add_nc_u32_e32 v109, 0x200, v38
	v_add_co_u32 v79, s1, 0x1000, v37
	v_add_co_ci_u32_e64 v80, s1, 0, v71, s1
	v_add_nc_u32_e32 v110, 0x800, v38
	v_add_nc_u32_e32 v111, 0xa00, v38
	;; [unrolled: 1-line block ×3, first 2 shown]
	global_load_dword v77, v[79:80], off offset:1616
	v_add_co_u32 v79, s1, 0x1650, v37
	v_add_co_ci_u32_e64 v80, s1, 0, v71, s1
	v_add_co_u32 v81, s1, 0x1800, v37
	v_add_co_ci_u32_e64 v82, s1, 0, v71, s1
	;; [unrolled: 2-line block ×3, first 2 shown]
	s_clause 0xa
	global_load_dword v95, v[79:80], off offset:336
	global_load_dword v96, v[79:80], off offset:672
	;; [unrolled: 1-line block ×11, first 2 shown]
	v_add_co_u32 v79, s1, 0x2800, v37
	v_add_co_ci_u32_e64 v80, s1, 0, v71, s1
	s_clause 0x4
	global_load_dword v37, v[83:84], off offset:1552
	global_load_dword v71, v[83:84], off offset:1888
	;; [unrolled: 1-line block ×5, first 2 shown]
	ds_read_b32 v79, v40
	v_add_nc_u32_e32 v113, 0x1000, v38
	v_add_nc_u32_e32 v114, 0x1200, v38
	s_waitcnt lgkmcnt(0)
	v_lshrrev_b32_e32 v80, 16, v79
	s_waitcnt vmcnt(16)
	v_mul_f16_sdwa v81, v80, v77 dst_sel:DWORD dst_unused:UNUSED_PAD src0_sel:DWORD src1_sel:WORD_1
	v_mul_f16_sdwa v82, v79, v77 dst_sel:DWORD dst_unused:UNUSED_PAD src0_sel:DWORD src1_sel:WORD_1
	v_fma_f16 v79, v79, v77, -v81
	v_fmac_f16_e32 v82, v80, v77
	v_pack_b32_f16 v77, v79, v82
	ds_write_b32 v40, v77
	v_add_nc_u32_e32 v77, 0x400, v38
	ds_read2_b32 v[79:80], v38 offset0:84 offset1:168
	ds_read2_b32 v[81:82], v109 offset0:124 offset1:208
	;; [unrolled: 1-line block ×8, first 2 shown]
	s_waitcnt lgkmcnt(7)
	v_lshrrev_b32_e32 v115, 16, v79
	s_waitcnt vmcnt(15)
	v_mul_f16_sdwa v116, v79, v95 dst_sel:DWORD dst_unused:UNUSED_PAD src0_sel:DWORD src1_sel:WORD_1
	v_lshrrev_b32_e32 v117, 16, v80
	s_waitcnt vmcnt(14)
	v_mul_f16_sdwa v118, v80, v96 dst_sel:DWORD dst_unused:UNUSED_PAD src0_sel:DWORD src1_sel:WORD_1
	s_waitcnt lgkmcnt(6)
	v_lshrrev_b32_e32 v119, 16, v81
	s_waitcnt vmcnt(13)
	v_mul_f16_sdwa v120, v81, v97 dst_sel:DWORD dst_unused:UNUSED_PAD src0_sel:DWORD src1_sel:WORD_1
	v_lshrrev_b32_e32 v121, 16, v82
	s_waitcnt vmcnt(12)
	v_mul_f16_sdwa v122, v82, v98 dst_sel:DWORD dst_unused:UNUSED_PAD src0_sel:DWORD src1_sel:WORD_1
	;; [unrolled: 7-line block ×3, first 2 shown]
	v_lshrrev_b32_e32 v127, 16, v85
	v_mul_f16_sdwa v128, v85, v100 dst_sel:DWORD dst_unused:UNUSED_PAD src0_sel:DWORD src1_sel:WORD_1
	v_lshrrev_b32_e32 v129, 16, v86
	s_waitcnt vmcnt(8)
	v_mul_f16_sdwa v130, v86, v102 dst_sel:DWORD dst_unused:UNUSED_PAD src0_sel:DWORD src1_sel:WORD_1
	s_waitcnt lgkmcnt(3)
	v_lshrrev_b32_e32 v131, 16, v87
	s_waitcnt vmcnt(7)
	v_mul_f16_sdwa v132, v87, v103 dst_sel:DWORD dst_unused:UNUSED_PAD src0_sel:DWORD src1_sel:WORD_1
	v_lshrrev_b32_e32 v133, 16, v88
	s_waitcnt vmcnt(6)
	v_mul_f16_sdwa v134, v88, v104 dst_sel:DWORD dst_unused:UNUSED_PAD src0_sel:DWORD src1_sel:WORD_1
	s_waitcnt lgkmcnt(2)
	v_lshrrev_b32_e32 v135, 16, v89
	s_waitcnt vmcnt(5)
	;; [unrolled: 7-line block ×4, first 2 shown]
	v_mul_f16_sdwa v144, v93, v107 dst_sel:DWORD dst_unused:UNUSED_PAD src0_sel:DWORD src1_sel:WORD_1
	v_lshrrev_b32_e32 v145, 16, v94
	v_mul_f16_sdwa v147, v115, v95 dst_sel:DWORD dst_unused:UNUSED_PAD src0_sel:DWORD src1_sel:WORD_1
	v_fmac_f16_e32 v116, v115, v95
	v_mul_f16_sdwa v115, v117, v96 dst_sel:DWORD dst_unused:UNUSED_PAD src0_sel:DWORD src1_sel:WORD_1
	v_fmac_f16_e32 v118, v117, v96
	;; [unrolled: 2-line block ×9, first 2 shown]
	v_mul_f16_sdwa v131, v133, v104 dst_sel:DWORD dst_unused:UNUSED_PAD src0_sel:DWORD src1_sel:WORD_1
	s_waitcnt vmcnt(0)
	v_mul_f16_sdwa v146, v94, v108 dst_sel:DWORD dst_unused:UNUSED_PAD src0_sel:DWORD src1_sel:WORD_1
	v_fmac_f16_e32 v134, v133, v104
	v_mul_f16_sdwa v133, v135, v105 dst_sel:DWORD dst_unused:UNUSED_PAD src0_sel:DWORD src1_sel:WORD_1
	v_fmac_f16_e32 v136, v135, v105
	;; [unrolled: 2-line block ×6, first 2 shown]
	v_mul_f16_sdwa v143, v145, v108 dst_sel:DWORD dst_unused:UNUSED_PAD src0_sel:DWORD src1_sel:WORD_1
	v_fma_f16 v79, v79, v95, -v147
	v_fma_f16 v80, v80, v96, -v115
	;; [unrolled: 1-line block ×10, first 2 shown]
	v_fmac_f16_e32 v146, v145, v108
	v_fma_f16 v89, v89, v105, -v133
	v_fma_f16 v37, v90, v37, -v135
	;; [unrolled: 1-line block ×6, first 2 shown]
	v_pack_b32_f16 v79, v79, v116
	v_pack_b32_f16 v80, v80, v118
	;; [unrolled: 1-line block ×16, first 2 shown]
	ds_write2_b32 v38, v79, v80 offset0:84 offset1:168
	ds_write2_b32 v109, v81, v82 offset0:124 offset1:208
	;; [unrolled: 1-line block ×8, first 2 shown]
.LBB0_13:
	s_or_b32 exec_lo, exec_lo, s2
	s_waitcnt lgkmcnt(0)
	s_barrier
	buffer_gl0_inv
	s_and_saveexec_b32 s1, vcc_lo
	s_cbranch_execz .LBB0_15
; %bb.14:
	v_add_nc_u32_e32 v17, 0x400, v40
	v_add_nc_u32_e32 v18, 0x600, v40
	;; [unrolled: 1-line block ×4, first 2 shown]
	ds_read2_b32 v[25:26], v40 offset1:84
	ds_read2_b32 v[33:34], v17 offset0:80 offset1:164
	v_add_nc_u32_e32 v17, 0xc00, v40
	ds_read2_b32 v[29:30], v18 offset0:120 offset1:204
	v_add_nc_u32_e32 v18, 0xe00, v40
	ds_read2_b32 v[27:28], v40 offset0:168 offset1:252
	ds_read2_b32 v[31:32], v23 offset0:160 offset1:244
	;; [unrolled: 1-line block ×5, first 2 shown]
	ds_read_b32 v42, v40 offset:5376
	s_waitcnt lgkmcnt(8)
	v_lshrrev_b32_e32 v65, 16, v25
	v_lshrrev_b32_e32 v78, 16, v26
	s_waitcnt lgkmcnt(7)
	v_lshrrev_b32_e32 v75, 16, v33
	v_lshrrev_b32_e32 v74, 16, v34
	s_waitcnt lgkmcnt(6)
	v_lshrrev_b32_e32 v68, 16, v29
	s_waitcnt lgkmcnt(5)
	v_lshrrev_b32_e32 v76, 16, v27
	v_lshrrev_b32_e32 v66, 16, v28
	;; [unrolled: 1-line block ×3, first 2 shown]
	s_waitcnt lgkmcnt(4)
	v_lshrrev_b32_e32 v72, 16, v31
	v_lshrrev_b32_e32 v67, 16, v32
	s_waitcnt lgkmcnt(3)
	v_lshrrev_b32_e32 v70, 16, v35
	v_lshrrev_b32_e32 v69, 16, v36
	;; [unrolled: 3-line block ×4, first 2 shown]
	s_waitcnt lgkmcnt(0)
	v_lshrrev_b32_e32 v44, 16, v42
.LBB0_15:
	s_or_b32 exec_lo, exec_lo, s1
	v_sub_f16_e32 v96, v78, v44
	v_add_f16_e32 v101, v44, v78
	v_add_f16_e32 v80, v42, v26
	v_sub_f16_e32 v82, v26, v42
	v_add_f16_e32 v103, v43, v76
	v_mul_f16_e32 v117, 0xbbf7, v96
	v_mul_f16_e32 v119, 0x2de8, v101
	v_sub_f16_e32 v97, v76, v43
	v_add_f16_e32 v81, v18, v27
	v_mul_f16_e32 v124, 0xbbb2, v96
	v_fma_f16 v37, v80, 0x2de8, -v117
	v_fmamk_f16 v71, v82, 0xbbf7, v119
	v_mul_f16_e32 v131, 0xb461, v101
	v_mul_f16_e32 v118, 0xb1e1, v97
	v_sub_f16_e32 v84, v27, v18
	v_mul_f16_e32 v121, 0xbbdd, v103
	v_add_f16_e32 v37, v25, v37
	v_add_f16_e32 v71, v65, v71
	v_fma_f16 v77, v80, 0xb461, -v124
	v_fmamk_f16 v79, v82, 0xbbb2, v131
	v_fma_f16 v83, v81, 0xbbdd, -v118
	v_sub_f16_e32 v98, v66, v45
	v_fmamk_f16 v85, v84, 0xb1e1, v121
	v_mul_f16_e32 v129, 0x3836, v97
	v_mul_f16_e32 v137, 0xbacd, v103
	v_add_f16_e32 v108, v45, v66
	v_add_f16_e32 v77, v25, v77
	;; [unrolled: 1-line block ×5, first 2 shown]
	v_mul_f16_e32 v120, 0x3bb2, v98
	v_add_f16_e32 v71, v85, v71
	v_fma_f16 v86, v81, 0xbacd, -v129
	v_fmamk_f16 v87, v84, 0x3836, v137
	v_sub_f16_e32 v85, v28, v17
	v_mul_f16_e32 v125, 0xb461, v108
	v_sub_f16_e32 v99, v75, v64
	v_fma_f16 v88, v83, 0xb461, -v120
	v_add_f16_e32 v77, v86, v77
	v_add_f16_e32 v79, v87, v79
	v_fmamk_f16 v87, v85, 0x3bb2, v125
	v_mul_f16_e32 v133, 0x3964, v98
	v_mul_f16_e32 v141, 0x39e9, v108
	v_add_f16_e32 v86, v24, v33
	v_mul_f16_e32 v123, 0x35c8, v99
	v_add_f16_e32 v105, v64, v75
	v_add_f16_e32 v37, v88, v37
	;; [unrolled: 1-line block ×3, first 2 shown]
	v_fma_f16 v88, v83, 0x39e9, -v133
	v_fmamk_f16 v89, v85, 0x3964, v141
	v_fma_f16 v90, v86, 0x3b76, -v123
	v_sub_f16_e32 v87, v33, v24
	v_mul_f16_e32 v128, 0x3b76, v105
	v_sub_f16_e32 v100, v74, v63
	v_mul_f16_e32 v139, 0xbb29, v99
	v_mul_f16_e32 v146, 0x3722, v105
	v_add_f16_e32 v106, v63, v74
	v_add_f16_e32 v77, v88, v77
	v_add_f16_e32 v79, v89, v79
	v_add_f16_e32 v37, v90, v37
	v_fmamk_f16 v90, v87, 0x35c8, v128
	v_add_f16_e32 v88, v23, v34
	v_mul_f16_e32 v126, 0xbb29, v100
	v_fma_f16 v91, v86, 0x3722, -v139
	v_fmamk_f16 v92, v87, 0xbb29, v146
	v_sub_f16_e32 v89, v34, v23
	v_mul_f16_e32 v132, 0x3722, v106
	v_add_f16_e32 v109, v69, v68
	v_fma_f16 v93, v88, 0x3722, -v126
	v_add_f16_e32 v71, v90, v71
	v_add_f16_e32 v77, v91, v77
	;; [unrolled: 1-line block ×3, first 2 shown]
	v_fmamk_f16 v92, v89, 0xbb29, v132
	v_sub_f16_e32 v102, v68, v69
	v_mul_f16_e32 v143, 0xb1e1, v100
	v_mul_f16_e32 v148, 0xbbdd, v106
	v_sub_f16_e32 v91, v29, v36
	v_mul_f16_e32 v138, 0xbacd, v109
	v_add_f16_e32 v37, v93, v37
	v_add_f16_e32 v90, v36, v29
	v_mul_f16_e32 v130, 0xb836, v102
	v_fma_f16 v93, v88, 0xbbdd, -v143
	v_fmamk_f16 v94, v89, 0xb1e1, v148
	v_add_f16_e32 v71, v92, v71
	v_fmamk_f16 v92, v91, 0xb836, v138
	v_mul_f16_e32 v142, 0x3bf7, v102
	v_sub_f16_e32 v107, v73, v70
	v_fma_f16 v95, v90, 0xbacd, -v130
	v_add_f16_e32 v77, v93, v77
	v_add_f16_e32 v79, v94, v79
	;; [unrolled: 1-line block ×4, first 2 shown]
	v_fma_f16 v94, v90, 0x2de8, -v142
	v_add_f16_e32 v92, v35, v30
	v_mul_f16_e32 v134, 0x3a62, v107
	v_mul_f16_e32 v147, 0xb5c8, v107
	v_add_f16_e32 v37, v95, v37
	v_mul_f16_e32 v151, 0x2de8, v109
	v_sub_f16_e32 v93, v30, v35
	v_mul_f16_e32 v140, 0xb8d2, v110
	v_fma_f16 v104, v92, 0xb8d2, -v134
	v_add_f16_e32 v77, v94, v77
	v_fma_f16 v111, v92, 0x3b76, -v147
	v_fmamk_f16 v95, v91, 0x3bf7, v151
	v_fmamk_f16 v94, v93, 0x3a62, v140
	v_add_f16_e32 v37, v104, v37
	v_mul_f16_e32 v152, 0x3b76, v110
	v_add_f16_e32 v104, v111, v77
	v_sub_f16_e32 v111, v72, v67
	v_add_f16_e32 v113, v67, v72
	v_add_f16_e32 v79, v95, v79
	;; [unrolled: 1-line block ×3, first 2 shown]
	v_fmamk_f16 v77, v93, 0xb5c8, v152
	v_add_f16_e32 v94, v32, v31
	v_sub_f16_e32 v95, v31, v32
	v_mul_f16_e32 v136, 0x3964, v111
	v_mul_f16_e32 v144, 0x39e9, v113
	;; [unrolled: 1-line block ×4, first 2 shown]
	v_add_f16_e32 v112, v77, v79
	v_fma_f16 v77, v94, 0x39e9, -v136
	v_fmamk_f16 v79, v95, 0x3964, v144
	v_fma_f16 v114, v94, 0xb8d2, -v149
	v_fmamk_f16 v115, v95, 0xba62, v150
	v_add_f16_e32 v77, v77, v37
	v_add_f16_e32 v79, v79, v71
	;; [unrolled: 1-line block ×4, first 2 shown]
	s_barrier
	buffer_gl0_inv
	s_and_saveexec_b32 s1, vcc_lo
	s_cbranch_execz .LBB0_17
; %bb.16:
	v_mul_f16_e32 v135, 0xba62, v82
	v_mul_f16_e32 v145, 0x3bb2, v84
	v_mul_f16_e32 v170, 0xb5c8, v85
	v_mul_f16_e32 v173, 0xb836, v87
	v_mul_f16_e32 v175, 0x3bf7, v89
	v_fmamk_f16 v104, v101, 0xb8d2, v135
	v_fmamk_f16 v112, v103, 0xb461, v145
	v_mul_f16_e32 v177, 0xba62, v96
	v_mul_f16_e32 v178, 0xb964, v91
	;; [unrolled: 1-line block ×3, first 2 shown]
	v_add_f16_e32 v104, v65, v104
	v_mul_f16_e32 v181, 0xb1e1, v93
	v_fma_f16 v114, v80, 0xb8d2, -v177
	v_mul_f16_e32 v182, 0xb5c8, v98
	v_fma_f16 v115, v81, 0xb461, -v180
	v_add_f16_e32 v104, v112, v104
	v_fmamk_f16 v112, v108, 0x3b76, v170
	v_add_f16_e32 v114, v25, v114
	v_mul_f16_e32 v184, 0xb836, v99
	v_mul_f16_e32 v122, 0xb836, v82
	;; [unrolled: 1-line block ×3, first 2 shown]
	v_add_f16_e32 v104, v112, v104
	v_fmamk_f16 v112, v105, 0xbacd, v173
	v_add_f16_e32 v114, v115, v114
	v_fma_f16 v115, v83, 0x3b76, -v182
	v_fmamk_f16 v116, v101, 0xbacd, v122
	v_mul_f16_e32 v127, 0x3b29, v84
	v_add_f16_e32 v104, v112, v104
	v_fmamk_f16 v112, v106, 0x2de8, v175
	v_mul_f16_e32 v185, 0x3b29, v95
	v_mul_f16_e32 v187, 0xb964, v102
	v_add_f16_e32 v116, v65, v116
	v_fmamk_f16 v188, v103, 0x3722, v127
	v_add_f16_e32 v104, v112, v104
	v_fmamk_f16 v112, v109, 0x39e9, v178
	v_mul_f16_e32 v189, 0xbbf7, v85
	v_mul_f16_e32 v190, 0xb1e1, v107
	v_add_f16_e32 v116, v188, v116
	v_mul_f16_e32 v191, 0x3a62, v87
	v_add_f16_e32 v104, v112, v104
	v_fmamk_f16 v112, v110, 0xbbdd, v181
	v_fmamk_f16 v188, v108, 0x2de8, v189
	v_mul_f16_e32 v193, 0xb836, v96
	v_mul_f16_e32 v192, 0x3b29, v111
	;; [unrolled: 1-line block ×3, first 2 shown]
	v_add_f16_e32 v104, v112, v104
	v_add_f16_e32 v112, v115, v114
	v_fma_f16 v114, v86, 0xbacd, -v184
	v_fmamk_f16 v115, v113, 0x3722, v185
	v_fma_f16 v195, v80, 0xbacd, -v193
	v_mul_f16_e32 v196, 0x3b29, v97
	v_mul_f16_e32 v197, 0x3964, v93
	v_add_f16_e32 v112, v114, v112
	v_fma_f16 v114, v88, 0x2de8, -v186
	v_add_f16_e32 v104, v115, v104
	v_add_f16_e32 v115, v188, v116
	v_fmamk_f16 v116, v105, 0xb8d2, v191
	v_mul_f16_e32 v188, 0xb5c8, v89
	v_add_f16_e32 v112, v114, v112
	v_fma_f16 v114, v90, 0x39e9, -v187
	v_add_f16_e32 v195, v25, v195
	v_fma_f16 v198, v81, 0x3722, -v196
	v_mul_f16_e32 v199, 0xbbf7, v98
	v_mul_f16_e32 v201, 0xb1e1, v82
	v_add_f16_e32 v112, v114, v112
	v_fma_f16 v114, v92, 0xbbdd, -v190
	v_mul_f16_e32 v204, 0x35c8, v84
	v_mul_f16_e32 v200, 0xbbb2, v95
	v_fmamk_f16 v203, v101, 0xbbdd, v201
	v_mul_f16_e32 v205, 0xb1e1, v102
	v_add_f16_e32 v112, v114, v112
	v_add_f16_e32 v114, v116, v115
	v_fmamk_f16 v115, v106, 0x3b76, v188
	v_fma_f16 v116, v94, 0x3722, -v192
	v_add_f16_e32 v203, v65, v203
	v_fmamk_f16 v206, v103, 0x3b76, v204
	v_mul_f16_e32 v207, 0xb836, v85
	v_add_f16_e32 v114, v115, v114
	v_fmamk_f16 v115, v109, 0xbbdd, v194
	v_add_f16_e32 v112, v116, v112
	v_add_f16_e32 v116, v198, v195
	v_fma_f16 v195, v83, 0x2de8, -v199
	v_mul_f16_e32 v198, 0x3a62, v99
	v_add_f16_e32 v114, v115, v114
	v_fmamk_f16 v115, v110, 0x39e9, v197
	v_fmamk_f16 v202, v113, 0xb461, v200
	v_mul_f16_e32 v208, 0x3964, v107
	v_add_f16_e32 v203, v206, v203
	v_fmamk_f16 v206, v108, 0xbacd, v207
	v_add_f16_e32 v114, v115, v114
	v_add_f16_e32 v115, v195, v116
	v_fma_f16 v116, v86, 0xb8d2, -v198
	v_mul_f16_e32 v195, 0xb5c8, v100
	v_mul_f16_e32 v209, 0x3964, v87
	v_add_f16_e32 v114, v202, v114
	v_add_f16_e32 v202, v206, v203
	;; [unrolled: 1-line block ×3, first 2 shown]
	v_fma_f16 v116, v88, 0x3b76, -v195
	v_fmamk_f16 v203, v105, 0x39e9, v209
	v_mul_f16_e32 v206, 0xba62, v89
	v_mul_f16_e32 v211, 0xb1e1, v96
	;; [unrolled: 1-line block ×3, first 2 shown]
	v_add_f16_e32 v115, v116, v115
	v_fma_f16 v116, v90, 0xbbdd, -v205
	v_mul_f16_e32 v214, 0x35c8, v97
	v_fma_f16 v213, v80, 0xbbdd, -v211
	v_fmac_f16_e32 v177, 0xb8d2, v80
	v_mul_f16_e32 v163, 0xb461, v80
	v_add_f16_e32 v115, v116, v115
	v_fma_f16 v116, v92, 0x39e9, -v208
	v_mul_f16_e32 v165, 0xbbb2, v82
	v_fma_f16 v212, v94, 0xb461, -v210
	v_mul_f16_e32 v215, 0xbbb2, v93
	v_add_f16_e32 v213, v25, v213
	v_add_f16_e32 v115, v116, v115
	;; [unrolled: 1-line block ×3, first 2 shown]
	v_fmamk_f16 v202, v106, 0xb8d2, v206
	v_mul_f16_e32 v203, 0x3b29, v91
	v_fma_f16 v216, v81, 0x3b76, -v214
	v_mul_f16_e32 v217, 0xb836, v98
	v_fma_f16 v201, v101, 0xbbdd, -v201
	v_add_f16_e32 v116, v202, v116
	v_fmamk_f16 v202, v109, 0x3722, v203
	v_add_f16_e32 v177, v25, v177
	v_fmac_f16_e32 v180, 0xb461, v81
	v_mul_f16_e32 v166, 0xbacd, v81
	v_mul_f16_e32 v167, 0x3836, v84
	v_add_f16_e32 v116, v202, v116
	v_fmamk_f16 v202, v110, 0xb461, v215
	v_add_f16_e32 v115, v212, v115
	v_add_f16_e32 v212, v216, v213
	v_fma_f16 v213, v83, 0xbacd, -v217
	v_mul_f16_e32 v216, 0x3964, v99
	v_add_f16_e32 v201, v65, v201
	v_fma_f16 v204, v103, 0x3b76, -v204
	v_add_f16_e32 v177, v180, v177
	v_fmac_f16_e32 v182, 0x3b76, v83
	v_sub_f16_e32 v131, v131, v165
	v_add_f16_e32 v124, v163, v124
	v_mul_f16_e32 v157, 0xbbf7, v82
	v_mul_f16_e32 v168, 0x39e9, v83
	;; [unrolled: 1-line block ×3, first 2 shown]
	v_add_f16_e32 v116, v202, v116
	v_mul_f16_e32 v202, 0x3bf7, v95
	v_add_f16_e32 v212, v213, v212
	v_fma_f16 v213, v86, 0x39e9, -v216
	v_mul_f16_e32 v218, 0xba62, v100
	v_add_f16_e32 v201, v204, v201
	v_fma_f16 v207, v108, 0xbacd, -v207
	v_add_f16_e32 v165, v182, v177
	v_add_f16_e32 v177, v65, v131
	v_sub_f16_e32 v137, v137, v167
	v_add_f16_e32 v163, v25, v124
	v_add_f16_e32 v129, v166, v129
	v_mul_f16_e32 v156, 0xb1e1, v84
	v_mul_f16_e32 v171, 0x3722, v86
	;; [unrolled: 1-line block ×3, first 2 shown]
	v_fmamk_f16 v219, v113, 0x2de8, v202
	v_add_f16_e32 v212, v213, v212
	v_fma_f16 v213, v88, 0xb8d2, -v218
	v_mul_f16_e32 v220, 0x3b29, v102
	v_add_f16_e32 v201, v207, v201
	v_fma_f16 v209, v105, 0x39e9, -v209
	v_add_f16_e32 v137, v137, v177
	v_sub_f16_e32 v141, v141, v169
	v_add_f16_e32 v129, v129, v163
	v_add_f16_e32 v133, v168, v133
	v_sub_f16_e32 v119, v119, v157
	v_mul_f16_e32 v161, 0x3bb2, v85
	v_mul_f16_e32 v176, 0xb1e1, v89
	v_add_f16_e32 v116, v219, v116
	v_add_f16_e32 v212, v213, v212
	v_fma_f16 v213, v90, 0x3722, -v220
	v_mul_f16_e32 v219, 0xbbb2, v107
	v_fmac_f16_e32 v211, 0xbbdd, v80
	v_add_f16_e32 v201, v209, v201
	v_fma_f16 v206, v106, 0xb8d2, -v206
	v_add_f16_e32 v137, v141, v137
	v_sub_f16_e32 v141, v146, v172
	v_add_f16_e32 v129, v133, v129
	v_add_f16_e32 v133, v171, v139
	v_add_f16_e32 v139, v65, v119
	v_sub_f16_e32 v121, v121, v156
	v_add_f16_e32 v26, v26, v25
	v_mul_f16_e32 v154, 0x2de8, v80
	v_mul_f16_e32 v162, 0x35c8, v87
	;; [unrolled: 1-line block ×4, first 2 shown]
	v_add_f16_e32 v212, v213, v212
	v_fma_f16 v213, v92, 0xb461, -v219
	v_add_f16_e32 v211, v25, v211
	v_fmac_f16_e32 v214, 0x3b76, v81
	v_add_f16_e32 v201, v206, v201
	v_mul_f16_e32 v206, 0x3bf7, v111
	v_fma_f16 v203, v109, 0x3722, -v203
	v_add_f16_e32 v137, v141, v137
	v_sub_f16_e32 v141, v148, v176
	v_add_f16_e32 v121, v121, v139
	v_sub_f16_e32 v125, v125, v161
	v_add_f16_e32 v26, v27, v26
	v_add_f16_e32 v27, v78, v65
	v_mul_f16_e32 v153, 0xbbdd, v81
	v_mul_f16_e32 v164, 0xbb29, v89
	;; [unrolled: 1-line block ×3, first 2 shown]
	v_add_f16_e32 v212, v213, v212
	v_add_f16_e32 v211, v214, v211
	v_mul_f16_e32 v214, 0xb5c8, v93
	v_fma_f16 v122, v101, 0xbacd, -v122
	v_add_f16_e32 v201, v203, v201
	v_fma_f16 v203, v94, 0x2de8, -v206
	v_add_f16_e32 v137, v141, v137
	v_sub_f16_e32 v141, v151, v204
	v_add_f16_e32 v129, v133, v129
	v_add_f16_e32 v133, v174, v143
	;; [unrolled: 1-line block ×4, first 2 shown]
	v_sub_f16_e32 v125, v128, v162
	v_add_f16_e32 v26, v28, v26
	v_add_f16_e32 v27, v76, v27
	v_mul_f16_e32 v155, 0xb461, v83
	v_mul_f16_e32 v179, 0xb836, v91
	;; [unrolled: 1-line block ×3, first 2 shown]
	v_add_f16_e32 v221, v65, v122
	v_add_f16_e32 v122, v203, v212
	v_mul_f16_e32 v212, 0xba62, v95
	v_add_f16_e32 v137, v141, v137
	v_sub_f16_e32 v141, v152, v214
	v_add_f16_e32 v129, v133, v129
	v_add_f16_e32 v133, v183, v142
	;; [unrolled: 1-line block ×5, first 2 shown]
	v_sub_f16_e32 v125, v132, v164
	v_add_f16_e32 v26, v33, v26
	v_add_f16_e32 v27, v66, v27
	v_mul_f16_e32 v158, 0x3b76, v86
	v_mul_f16_e32 v203, 0xb8d2, v94
	v_add_f16_e32 v137, v141, v137
	v_sub_f16_e32 v128, v150, v212
	v_add_f16_e32 v129, v133, v129
	v_add_f16_e32 v132, v213, v147
	v_add_f16_e32 v118, v118, v117
	v_add_f16_e32 v120, v155, v120
	v_add_f16_e32 v121, v125, v121
	v_sub_f16_e32 v125, v138, v179
	v_add_f16_e32 v26, v34, v26
	v_add_f16_e32 v27, v75, v27
	v_mul_f16_e32 v159, 0x3722, v88
	v_mul_f16_e32 v209, 0x3a62, v93
	v_fmac_f16_e32 v217, 0xbacd, v83
	v_add_f16_e32 v117, v128, v137
	v_add_f16_e32 v128, v132, v129
	;; [unrolled: 1-line block ×6, first 2 shown]
	v_mul_f16_e32 v125, 0x3722, v101
	v_mul_f16_e32 v33, 0xb5c8, v96
	v_add_f16_e32 v26, v29, v26
	v_add_f16_e32 v27, v74, v27
	v_mul_f16_e32 v160, 0xbacd, v90
	v_add_f16_e32 v211, v217, v211
	v_fmac_f16_e32 v216, 0x39e9, v86
	v_sub_f16_e32 v129, v140, v209
	v_add_f16_e32 v118, v120, v118
	v_add_f16_e32 v120, v159, v126
	v_add_f16_e32 v123, v123, v128
	v_fmamk_f16 v126, v82, 0x3b29, v125
	v_mul_f16_e32 v128, 0xb8d2, v103
	v_fmamk_f16 v34, v80, 0x3b76, v33
	v_mul_f16_e32 v75, 0xb964, v97
	v_add_f16_e32 v26, v30, v26
	v_add_f16_e32 v27, v68, v27
	;; [unrolled: 1-line block ×3, first 2 shown]
	v_mul_f16_e32 v216, 0x3964, v95
	v_add_f16_e32 v121, v129, v121
	v_add_f16_e32 v118, v120, v118
	;; [unrolled: 1-line block ×4, first 2 shown]
	v_fmamk_f16 v129, v84, 0x3a62, v128
	v_mul_f16_e32 v130, 0xbbdd, v108
	v_add_f16_e32 v29, v25, v34
	v_fmamk_f16 v34, v81, 0x39e9, v75
	v_mul_f16_e32 v74, 0xbb29, v98
	v_add_f16_e32 v26, v31, v26
	v_add_f16_e32 v27, v73, v27
	v_sub_f16_e32 v132, v144, v216
	v_add_f16_e32 v126, v129, v126
	v_fmamk_f16 v129, v85, 0xb1e1, v130
	v_mul_f16_e32 v133, 0xb461, v105
	v_add_f16_e32 v29, v34, v29
	v_fmamk_f16 v30, v83, 0x3722, v74
	v_mul_f16_e32 v31, 0xbbf7, v99
	v_add_f16_e32 v26, v32, v26
	v_add_f16_e32 v27, v72, v27
	v_fmac_f16_e32 v184, 0xbacd, v86
	v_add_f16_e32 v121, v132, v121
	v_add_f16_e32 v126, v129, v126
	v_fmamk_f16 v129, v87, 0xbbb2, v133
	v_mul_f16_e32 v132, 0x39e9, v106
	v_add_f16_e32 v29, v30, v29
	v_fmamk_f16 v30, v86, 0x2de8, v31
	v_mul_f16_e32 v32, 0xbbb2, v100
	v_add_f16_e32 v26, v35, v26
	v_add_f16_e32 v27, v67, v27
	v_add_f16_e32 v165, v184, v165
	v_fmac_f16_e32 v186, 0x2de8, v88
	v_add_f16_e32 v126, v129, v126
	v_fmamk_f16 v129, v89, 0xb964, v132
	v_mul_f16_e32 v138, 0x3b76, v109
	v_mul_f16_e32 v207, 0xb8d2, v92
	v_add_f16_e32 v29, v30, v29
	v_fmamk_f16 v30, v88, 0xb461, v32
	v_mul_f16_e32 v35, 0xba62, v102
	v_add_f16_e32 v26, v36, v26
	v_add_f16_e32 v27, v70, v27
	;; [unrolled: 1-line block ×3, first 2 shown]
	v_fmac_f16_e32 v187, 0x39e9, v90
	v_add_f16_e32 v126, v129, v126
	v_fmamk_f16 v129, v91, 0x35c8, v138
	v_mul_f16_e32 v141, 0x2de8, v110
	v_add_f16_e32 v118, v120, v118
	v_add_f16_e32 v120, v207, v134
	;; [unrolled: 1-line block ×3, first 2 shown]
	v_fmamk_f16 v30, v90, 0xb8d2, v35
	v_add_f16_e32 v23, v23, v26
	v_add_f16_e32 v26, v69, v27
	v_mul_f16_e32 v27, 0xb836, v107
	v_add_f16_e32 v146, v187, v165
	v_fmac_f16_e32 v190, 0xbbdd, v92
	v_add_f16_e32 v126, v129, v126
	v_fmamk_f16 v129, v93, 0x3bf7, v141
	v_mul_f16_e32 v143, 0x39e9, v101
	v_mul_f16_e32 v217, 0x39e9, v94
	v_add_f16_e32 v118, v120, v118
	v_mul_f16_e32 v120, 0xbb29, v96
	v_add_f16_e32 v29, v30, v29
	v_add_f16_e32 v23, v24, v23
	;; [unrolled: 1-line block ×3, first 2 shown]
	v_fmamk_f16 v26, v92, 0xbacd, v27
	v_mul_f16_e32 v30, 0xb1e1, v111
	v_add_f16_e32 v146, v190, v146
	v_fmac_f16_e32 v192, 0x3722, v94
	v_add_f16_e32 v126, v129, v126
	v_mul_f16_e32 v129, 0xbacd, v113
	v_fmamk_f16 v147, v82, 0x3964, v143
	v_mul_f16_e32 v148, 0x2de8, v103
	v_add_f16_e32 v134, v217, v136
	v_fmamk_f16 v136, v80, 0x3722, v120
	v_mul_f16_e32 v137, 0xba62, v97
	v_add_f16_e32 v17, v17, v23
	v_add_f16_e32 v23, v64, v24
	;; [unrolled: 1-line block ×3, first 2 shown]
	v_fmamk_f16 v26, v94, 0xbbdd, v30
	v_add_f16_e32 v119, v192, v146
	v_fmamk_f16 v146, v95, 0x3836, v129
	v_add_f16_e32 v147, v65, v147
	v_fmamk_f16 v150, v84, 0x3bf7, v148
	v_mul_f16_e32 v151, 0xb8d2, v108
	v_add_f16_e32 v136, v25, v136
	v_fmamk_f16 v139, v81, 0xb8d2, v137
	v_mul_f16_e32 v140, 0x31e1, v98
	v_add_f16_e32 v17, v18, v17
	v_add_f16_e32 v18, v45, v23
	;; [unrolled: 1-line block ×3, first 2 shown]
	v_fma_f16 v24, v80, 0x3722, -v120
	v_add_f16_e32 v126, v146, v126
	v_add_f16_e32 v146, v150, v147
	v_fmamk_f16 v147, v85, 0x3a62, v151
	v_mul_f16_e32 v150, 0xbbdd, v105
	v_add_f16_e32 v136, v139, v136
	v_fmamk_f16 v139, v83, 0xbbdd, v140
	v_mul_f16_e32 v142, 0x3bb2, v99
	v_add_f16_e32 v24, v25, v24
	v_fma_f16 v29, v81, 0xb8d2, -v137
	v_fmac_f16_e32 v143, 0xb964, v82
	v_fma_f16 v127, v103, 0x3722, -v127
	v_add_f16_e32 v146, v147, v146
	v_fmamk_f16 v147, v87, 0x31e1, v150
	v_mul_f16_e32 v153, 0xbacd, v106
	v_add_f16_e32 v118, v134, v118
	v_add_f16_e32 v134, v139, v136
	v_fmamk_f16 v136, v86, 0xb461, v142
	v_mul_f16_e32 v139, 0x3964, v100
	v_add_f16_e32 v17, v42, v17
	v_add_f16_e32 v24, v29, v24
	v_fma_f16 v29, v83, 0xbbdd, -v140
	v_add_f16_e32 v42, v65, v143
	v_fmac_f16_e32 v148, 0xbbf7, v84
	v_add_f16_e32 v127, v127, v221
	v_fma_f16 v189, v108, 0x2de8, -v189
	v_add_f16_e32 v146, v147, v146
	v_fmamk_f16 v147, v89, 0xb836, v153
	v_mul_f16_e32 v157, 0xb461, v109
	v_add_f16_e32 v134, v136, v134
	v_fmamk_f16 v136, v88, 0x39e9, v139
	v_mul_f16_e32 v144, 0xb5c8, v102
	v_add_f16_e32 v24, v29, v24
	v_fma_f16 v29, v86, 0xb461, -v142
	v_add_f16_e32 v42, v148, v42
	v_fmac_f16_e32 v151, 0xba62, v85
	v_add_f16_e32 v127, v189, v127
	v_fma_f16 v189, v105, 0xb8d2, -v191
	v_add_f16_e32 v146, v147, v146
	v_fmamk_f16 v147, v91, 0xbbb2, v157
	v_mul_f16_e32 v160, 0x3722, v110
	v_add_f16_e32 v134, v136, v134
	v_fmamk_f16 v136, v90, 0x3b76, v144
	v_mul_f16_e32 v149, 0xbbf7, v107
	v_mul_f16_e32 v152, 0xb964, v96
	v_add_f16_e32 v24, v29, v24
	v_fma_f16 v29, v88, 0x39e9, -v139
	v_add_f16_e32 v42, v151, v42
	v_fmac_f16_e32 v150, 0xb1e1, v87
	v_add_f16_e32 v189, v189, v127
	v_fma_f16 v188, v106, 0x3b76, -v188
	v_fma_f16 v135, v101, 0xb8d2, -v135
	v_add_f16_e32 v146, v147, v146
	v_fmamk_f16 v147, v93, 0xbb29, v160
	v_mul_f16_e32 v101, 0x3b76, v101
	v_add_f16_e32 v134, v136, v134
	v_fmamk_f16 v136, v92, 0x2de8, v149
	v_fmamk_f16 v155, v80, 0x39e9, v152
	v_mul_f16_e32 v156, 0xbbf7, v97
	v_add_f16_e32 v24, v29, v24
	v_fma_f16 v29, v90, 0x3b76, -v144
	v_add_f16_e32 v42, v150, v42
	v_fmac_f16_e32 v153, 0x3836, v89
	v_add_f16_e32 v188, v188, v189
	v_fma_f16 v189, v109, 0xbbdd, -v194
	v_add_f16_e32 v194, v65, v135
	v_fma_f16 v145, v103, 0xb461, -v145
	v_add_f16_e32 v146, v147, v146
	v_mul_f16_e32 v147, 0x3b76, v113
	v_fmamk_f16 v164, v82, 0x35c8, v101
	v_mul_f16_e32 v103, 0x39e9, v103
	v_add_f16_e32 v134, v136, v134
	v_mul_f16_e32 v136, 0xb836, v111
	v_add_f16_e32 v155, v25, v155
	v_fmamk_f16 v158, v81, 0x2de8, v156
	v_mul_f16_e32 v159, 0xba62, v98
	v_add_f16_e32 v24, v29, v24
	v_fma_f16 v29, v92, 0x2de8, -v149
	v_add_f16_e32 v42, v153, v42
	v_fmac_f16_e32 v157, 0x3bb2, v91
	v_fmac_f16_e32 v193, 0xbacd, v80
	v_add_f16_e32 v145, v145, v194
	v_fma_f16 v170, v108, 0x3b76, -v170
	v_fmamk_f16 v163, v95, 0xb5c8, v147
	v_add_f16_e32 v164, v65, v164
	v_fmamk_f16 v166, v84, 0x3964, v103
	v_mul_f16_e32 v108, 0x3722, v108
	v_fmamk_f16 v154, v94, 0xbacd, v136
	v_add_f16_e32 v155, v158, v155
	v_fmamk_f16 v158, v83, 0xb8d2, v159
	v_mul_f16_e32 v161, 0xb1e1, v99
	v_add_f16_e32 v18, v43, v18
	v_add_f16_e32 v24, v29, v24
	v_fma_f16 v29, v94, 0xbacd, -v136
	v_add_f16_e32 v42, v157, v42
	v_fmac_f16_e32 v160, 0x3b29, v93
	v_fma_f16 v43, v80, 0x39e9, -v152
	v_fmac_f16_e32 v101, 0xb5c8, v82
	v_add_f16_e32 v193, v25, v193
	v_fmac_f16_e32 v196, 0x3722, v81
	v_fmac_f16_e32 v125, 0xbb29, v82
	v_fma_f16 v33, v80, 0x3b76, -v33
	v_add_f16_e32 v145, v170, v145
	v_fma_f16 v170, v105, 0xbacd, -v173
	v_add_f16_e32 v146, v163, v146
	v_add_f16_e32 v163, v166, v164
	v_fmamk_f16 v164, v85, 0x3b29, v108
	v_mul_f16_e32 v105, 0x2de8, v105
	v_add_f16_e32 v134, v154, v134
	v_add_f16_e32 v154, v158, v155
	v_fmamk_f16 v155, v86, 0xbbdd, v161
	v_mul_f16_e32 v158, 0x3836, v100
	v_add_f16_e32 v18, v44, v18
	v_add_f16_e32 v24, v29, v24
	;; [unrolled: 1-line block ×4, first 2 shown]
	v_fma_f16 v43, v81, 0x2de8, -v156
	v_add_f16_e32 v44, v65, v101
	v_fmac_f16_e32 v103, 0xb964, v84
	v_add_f16_e32 v193, v196, v193
	v_fmac_f16_e32 v199, 0x2de8, v83
	;; [unrolled: 2-line block ×3, first 2 shown]
	v_add_f16_e32 v25, v25, v33
	v_fma_f16 v33, v81, 0x39e9, -v75
	v_fma_f16 v175, v106, 0x2de8, -v175
	v_add_f16_e32 v163, v164, v163
	v_fmamk_f16 v78, v87, 0x3bf7, v105
	v_mul_f16_e32 v106, 0xb461, v106
	v_add_f16_e32 v154, v155, v154
	v_fmamk_f16 v155, v88, 0xbacd, v158
	v_mul_f16_e32 v162, 0x3bb2, v102
	v_add_f16_e32 v42, v43, v42
	v_fma_f16 v43, v83, 0xb8d2, -v159
	v_add_f16_e32 v44, v103, v44
	v_fmac_f16_e32 v108, 0xbb29, v85
	v_fmac_f16_e32 v218, 0xb8d2, v88
	v_add_f16_e32 v193, v199, v193
	v_fmac_f16_e32 v198, 0xb8d2, v86
	v_add_f16_e32 v26, v128, v26
	;; [unrolled: 2-line block ×3, first 2 shown]
	v_fma_f16 v33, v83, 0x3722, -v74
	v_add_f16_e32 v28, v78, v163
	v_fmamk_f16 v76, v89, 0x3bb2, v106
	v_mul_f16_e32 v66, 0xb8d2, v109
	v_add_f16_e32 v154, v155, v154
	v_fmamk_f16 v155, v90, 0xb461, v162
	v_mul_f16_e32 v165, 0x3b29, v107
	v_add_f16_e32 v42, v43, v42
	v_fma_f16 v43, v86, 0xbbdd, -v161
	v_add_f16_e32 v44, v108, v44
	v_fmac_f16_e32 v105, 0xbbf7, v87
	v_add_f16_e32 v211, v218, v211
	v_fmac_f16_e32 v220, 0x3722, v90
	v_add_f16_e32 v188, v189, v188
	v_fma_f16 v189, v110, 0x39e9, -v197
	v_add_f16_e32 v193, v198, v193
	v_fmac_f16_e32 v195, 0x3b76, v88
	v_add_f16_e32 v170, v170, v145
	v_add_f16_e32 v26, v130, v26
	v_fmac_f16_e32 v133, 0x3bb2, v87
	v_add_f16_e32 v25, v33, v25
	v_fma_f16 v31, v86, 0x2de8, -v31
	v_add_f16_e32 v28, v76, v28
	v_fmamk_f16 v76, v91, 0x3a62, v66
	v_mul_f16_e32 v34, 0xbacd, v110
	v_add_f16_e32 v154, v155, v154
	v_fmamk_f16 v155, v92, 0x3722, v165
	v_add_f16_e32 v42, v43, v42
	v_fma_f16 v43, v88, 0xbacd, -v158
	v_add_f16_e32 v44, v105, v44
	v_fmac_f16_e32 v106, 0xbbb2, v89
	v_add_f16_e32 v191, v220, v211
	v_fmac_f16_e32 v219, 0xb461, v92
	v_add_f16_e32 v188, v189, v188
	v_add_f16_e32 v189, v195, v193
	v_fmac_f16_e32 v205, 0xbbdd, v90
	v_add_f16_e32 v170, v175, v170
	v_fma_f16 v175, v109, 0x39e9, -v178
	v_add_f16_e32 v26, v133, v26
	v_fmac_f16_e32 v132, 0x3964, v89
	v_add_f16_e32 v25, v31, v25
	v_fma_f16 v31, v88, 0xb461, -v32
	v_add_f16_e32 v28, v76, v28
	v_fmamk_f16 v68, v93, 0x3836, v34
	v_mul_f16_e32 v36, 0xbbdd, v113
	v_add_f16_e32 v154, v155, v154
	v_mul_f16_e32 v155, 0x35c8, v111
	v_add_f16_e32 v33, v43, v42
	v_fma_f16 v42, v90, 0xb461, -v162
	v_add_f16_e32 v43, v106, v44
	v_fmac_f16_e32 v66, 0xba62, v91
	v_add_f16_e32 v191, v219, v191
	v_fmac_f16_e32 v206, 0x2de8, v94
	;; [unrolled: 2-line block ×3, first 2 shown]
	v_add_f16_e32 v170, v175, v170
	v_fma_f16 v175, v110, 0xbbdd, -v181
	v_add_f16_e32 v26, v132, v26
	v_fmac_f16_e32 v138, 0xb5c8, v91
	v_add_f16_e32 v25, v31, v25
	v_fma_f16 v31, v90, 0xb8d2, -v35
	v_fma_f16 v215, v110, 0xb461, -v215
	v_add_f16_e32 v28, v68, v28
	v_fmamk_f16 v63, v95, 0x31e1, v36
	v_fmamk_f16 v164, v94, 0x3b76, v155
	v_add_f16_e32 v32, v42, v33
	v_fma_f16 v33, v92, 0x3722, -v165
	v_add_f16_e32 v42, v66, v43
	v_fmac_f16_e32 v34, 0xb836, v93
	v_add_f16_e32 v135, v206, v191
	v_fma_f16 v191, v113, 0xb461, -v200
	v_add_f16_e32 v173, v208, v173
	v_fmac_f16_e32 v210, 0xb461, v94
	;; [unrolled: 4-line block ×3, first 2 shown]
	v_add_f16_e32 v25, v31, v25
	v_fma_f16 v27, v92, 0xbacd, -v27
	v_add_f16_e32 v201, v215, v201
	v_fma_f16 v202, v113, 0x2de8, -v202
	v_add_f16_e32 v28, v63, v28
	v_mov_b32_e32 v31, 2
	v_add_f16_e32 v78, v164, v154
	v_add_f16_e32 v32, v33, v32
	v_fma_f16 v33, v94, 0x3b76, -v155
	v_add_f16_e32 v34, v34, v42
	v_fmac_f16_e32 v36, 0xb1e1, v95
	v_add_f16_e32 v145, v191, v188
	v_add_f16_e32 v131, v210, v173
	;; [unrolled: 1-line block ×4, first 2 shown]
	v_fmac_f16_e32 v129, 0xb836, v95
	v_fmac_f16_e32 v147, 0x35c8, v95
	v_add_f16_e32 v25, v27, v25
	v_fma_f16 v27, v94, 0xbbdd, -v30
	v_add_f16_e32 v127, v202, v201
	v_lshlrev_b32_sdwa v30, v31, v41 dst_sel:DWORD dst_unused:UNUSED_PAD src0_sel:DWORD src1_sel:WORD_0
	v_pack_b32_f16 v23, v23, v28
	v_pack_b32_f16 v17, v17, v18
	;; [unrolled: 1-line block ×4, first 2 shown]
	v_add_f16_e32 v32, v33, v32
	v_add_f16_e32 v33, v36, v34
	v_pack_b32_f16 v31, v123, v117
	v_pack_b32_f16 v34, v118, v121
	v_add_f16_e32 v26, v129, v26
	v_add_f16_e32 v29, v147, v29
	v_pack_b32_f16 v35, v131, v145
	v_pack_b32_f16 v36, v119, v124
	v_add_f16_e32 v25, v27, v25
	ds_write2_b32 v30, v17, v23 offset1:1
	ds_write2_b32 v30, v28, v18 offset0:2 offset1:3
	ds_write2_b32 v30, v34, v31 offset0:4 offset1:5
	;; [unrolled: 1-line block ×3, first 2 shown]
	v_pack_b32_f16 v17, v122, v116
	v_pack_b32_f16 v18, v135, v127
	;; [unrolled: 1-line block ×4, first 2 shown]
	v_perm_b32 v28, v79, v77, 0x5040100
	v_perm_b32 v31, v71, v37, 0x5040100
	v_pack_b32_f16 v29, v32, v29
	v_pack_b32_f16 v24, v24, v26
	;; [unrolled: 1-line block ×3, first 2 shown]
	ds_write2_b32 v30, v18, v17 offset0:8 offset1:9
	ds_write2_b32 v30, v27, v23 offset0:10 offset1:11
	;; [unrolled: 1-line block ×4, first 2 shown]
	ds_write_b32 v30, v25 offset:64
.LBB0_17:
	s_or_b32 exec_lo, exec_lo, s1
	v_add_nc_u32_e32 v23, 0xa00, v40
	v_add_nc_u32_e32 v25, 0x200, v40
	s_waitcnt lgkmcnt(0)
	s_barrier
	buffer_gl0_inv
	ds_read2_b32 v[17:18], v40 offset1:119
	v_add_nc_u32_e32 v41, 0xe00, v40
	ds_read2_b32 v[23:24], v23 offset0:74 offset1:193
	ds_read2_b32 v[25:26], v25 offset0:110 offset1:229
	v_add_nc_u32_e32 v42, 0x600, v40
	v_add_nc_u32_e32 v31, 0x1200, v40
	ds_read2_b32 v[27:28], v41 offset0:56 offset1:175
	ds_read2_b32 v[29:30], v42 offset0:92 offset1:211
	;; [unrolled: 1-line block ×3, first 2 shown]
	s_waitcnt lgkmcnt(0)
	s_barrier
	buffer_gl0_inv
	v_lshrrev_b32_e32 v33, 16, v17
	v_lshrrev_b32_e32 v35, 16, v23
	;; [unrolled: 1-line block ×3, first 2 shown]
	v_mul_f16_sdwa v68, v51, v23 dst_sel:DWORD dst_unused:UNUSED_PAD src0_sel:WORD_1 src1_sel:DWORD
	v_mul_f16_sdwa v69, v53, v24 dst_sel:DWORD dst_unused:UNUSED_PAD src0_sel:WORD_1 src1_sel:DWORD
	v_lshrrev_b32_e32 v44, 16, v27
	v_lshrrev_b32_e32 v63, 16, v28
	v_mul_f16_sdwa v72, v51, v35 dst_sel:DWORD dst_unused:UNUSED_PAD src0_sel:WORD_1 src1_sel:DWORD
	v_mul_f16_sdwa v73, v53, v36 dst_sel:DWORD dst_unused:UNUSED_PAD src0_sel:WORD_1 src1_sel:DWORD
	v_lshrrev_b32_e32 v65, 16, v31
	v_mul_f16_sdwa v70, v52, v27 dst_sel:DWORD dst_unused:UNUSED_PAD src0_sel:WORD_1 src1_sel:DWORD
	v_fma_f16 v35, v51, v35, -v68
	v_mul_f16_sdwa v68, v52, v44 dst_sel:DWORD dst_unused:UNUSED_PAD src0_sel:WORD_1 src1_sel:DWORD
	v_lshrrev_b32_e32 v67, 16, v32
	v_fmac_f16_e32 v72, v51, v23
	v_fmac_f16_e32 v73, v53, v24
	v_mul_f16_sdwa v23, v50, v63 dst_sel:DWORD dst_unused:UNUSED_PAD src0_sel:WORD_1 src1_sel:DWORD
	v_mul_f16_sdwa v24, v50, v28 dst_sel:DWORD dst_unused:UNUSED_PAD src0_sel:WORD_1 src1_sel:DWORD
	v_fmac_f16_e32 v68, v52, v27
	v_fma_f16 v27, v52, v44, -v70
	v_mul_f16_sdwa v44, v49, v65 dst_sel:DWORD dst_unused:UNUSED_PAD src0_sel:WORD_1 src1_sel:DWORD
	v_fmac_f16_e32 v23, v50, v28
	v_fma_f16 v24, v50, v63, -v24
	v_mul_f16_sdwa v50, v48, v67 dst_sel:DWORD dst_unused:UNUSED_PAD src0_sel:WORD_1 src1_sel:DWORD
	v_mul_f16_sdwa v28, v49, v31 dst_sel:DWORD dst_unused:UNUSED_PAD src0_sel:WORD_1 src1_sel:DWORD
	v_fmac_f16_e32 v44, v49, v31
	v_mul_f16_sdwa v31, v48, v32 dst_sel:DWORD dst_unused:UNUSED_PAD src0_sel:WORD_1 src1_sel:DWORD
	v_lshrrev_b32_e32 v34, 16, v18
	v_fma_f16 v36, v53, v36, -v69
	v_sub_f16_e32 v51, v17, v72
	v_fmac_f16_e32 v50, v48, v32
	v_sub_f16_e32 v35, v33, v35
	v_lshrrev_b32_e32 v43, 16, v25
	v_lshrrev_b32_e32 v45, 16, v26
	;; [unrolled: 1-line block ×3, first 2 shown]
	v_fma_f16 v28, v49, v65, -v28
	v_lshrrev_b32_e32 v66, 16, v30
	v_fma_f16 v32, v48, v67, -v31
	v_fma_f16 v48, v17, 2.0, -v51
	v_sub_f16_e32 v49, v18, v73
	v_sub_f16_e32 v52, v34, v36
	v_fma_f16 v53, v33, 2.0, -v35
	v_sub_f16_e32 v17, v26, v23
	v_sub_f16_e32 v23, v29, v44
	;; [unrolled: 1-line block ×8, first 2 shown]
	v_fma_f16 v65, v18, 2.0, -v49
	v_fma_f16 v67, v34, 2.0, -v52
	v_fma_f16 v18, v29, 2.0, -v23
	v_fma_f16 v24, v30, 2.0, -v36
	v_pack_b32_f16 v29, v48, v53
	v_pack_b32_f16 v30, v51, v35
	v_fma_f16 v25, v25, 2.0, -v63
	v_fma_f16 v43, v43, 2.0, -v27
	;; [unrolled: 1-line block ×6, first 2 shown]
	ds_write2_b32 v58, v29, v30 offset1:17
	v_pack_b32_f16 v29, v65, v67
	v_pack_b32_f16 v30, v49, v52
	;; [unrolled: 1-line block ×10, first 2 shown]
	ds_write2_b32 v59, v29, v30 offset1:17
	ds_write2_b32 v54, v25, v27 offset1:17
	ds_write2_b32 v55, v26, v28 offset1:17
	ds_write2_b32 v56, v43, v44 offset1:17
	ds_write2_b32 v57, v45, v48 offset1:17
	v_add_nc_u32_e32 v27, 0xc00, v40
	s_waitcnt lgkmcnt(0)
	s_barrier
	buffer_gl0_inv
	ds_read2_b32 v[25:26], v40 offset1:204
	ds_read2_b32 v[29:30], v42 offset0:24 offset1:228
	ds_read2_b32 v[27:28], v27 offset0:48 offset1:252
	ds_read_b32 v42, v40 offset:4896
	s_and_saveexec_b32 s1, s0
	s_cbranch_execz .LBB0_19
; %bb.18:
	v_add_nc_u32_e32 v17, 0x180, v40
	v_add_nc_u32_e32 v23, 0x800, v40
	ds_read2_b32 v[36:37], v41 offset0:39 offset1:243
	ds_read2_b32 v[17:18], v17 offset0:23 offset1:227
	;; [unrolled: 1-line block ×3, first 2 shown]
	ds_read_b32 v77, v40 offset:5372
	s_waitcnt lgkmcnt(3)
	v_lshrrev_b32_e32 v32, 16, v36
	v_lshrrev_b32_e32 v71, 16, v37
	s_waitcnt lgkmcnt(2)
	v_lshrrev_b32_e32 v31, 16, v17
	v_lshrrev_b32_e32 v34, 16, v18
	;; [unrolled: 3-line block ×3, first 2 shown]
	s_waitcnt lgkmcnt(0)
	v_lshrrev_b32_e32 v79, 16, v77
.LBB0_19:
	s_or_b32 exec_lo, exec_lo, s1
	s_waitcnt lgkmcnt(3)
	v_lshrrev_b32_e32 v41, 16, v26
	s_waitcnt lgkmcnt(2)
	v_lshrrev_b32_e32 v43, 16, v29
	v_lshrrev_b32_e32 v44, 16, v30
	v_mul_f16_sdwa v45, v4, v26 dst_sel:DWORD dst_unused:UNUSED_PAD src0_sel:WORD_1 src1_sel:DWORD
	s_waitcnt lgkmcnt(1)
	v_lshrrev_b32_e32 v48, 16, v27
	v_mul_f16_sdwa v49, v4, v41 dst_sel:DWORD dst_unused:UNUSED_PAD src0_sel:WORD_1 src1_sel:DWORD
	v_lshrrev_b32_e32 v50, 16, v28
	s_waitcnt lgkmcnt(0)
	v_lshrrev_b32_e32 v51, 16, v42
	v_fma_f16 v41, v4, v41, -v45
	v_mul_f16_sdwa v45, v5, v43 dst_sel:DWORD dst_unused:UNUSED_PAD src0_sel:WORD_1 src1_sel:DWORD
	v_fmac_f16_e32 v49, v4, v26
	v_mul_f16_sdwa v4, v5, v29 dst_sel:DWORD dst_unused:UNUSED_PAD src0_sel:WORD_1 src1_sel:DWORD
	v_mul_f16_sdwa v26, v6, v44 dst_sel:DWORD dst_unused:UNUSED_PAD src0_sel:WORD_1 src1_sel:DWORD
	;; [unrolled: 1-line block ×4, first 2 shown]
	v_fmac_f16_e32 v45, v5, v29
	v_fma_f16 v4, v5, v43, -v4
	v_fmac_f16_e32 v26, v6, v30
	v_fma_f16 v5, v6, v44, -v52
	v_mul_f16_sdwa v6, v22, v51 dst_sel:DWORD dst_unused:UNUSED_PAD src0_sel:WORD_1 src1_sel:DWORD
	v_mul_f16_sdwa v29, v22, v42 dst_sel:DWORD dst_unused:UNUSED_PAD src0_sel:WORD_1 src1_sel:DWORD
	v_mul_f16_sdwa v30, v21, v50 dst_sel:DWORD dst_unused:UNUSED_PAD src0_sel:WORD_1 src1_sel:DWORD
	v_mul_f16_sdwa v43, v21, v28 dst_sel:DWORD dst_unused:UNUSED_PAD src0_sel:WORD_1 src1_sel:DWORD
	v_fmac_f16_e32 v53, v7, v27
	v_mul_f16_sdwa v27, v7, v27 dst_sel:DWORD dst_unused:UNUSED_PAD src0_sel:WORD_1 src1_sel:DWORD
	v_fmac_f16_e32 v6, v22, v42
	v_fma_f16 v22, v22, v51, -v29
	v_fmac_f16_e32 v30, v21, v28
	v_fma_f16 v21, v21, v50, -v43
	v_fma_f16 v7, v7, v48, -v27
	v_add_f16_e32 v27, v49, v6
	v_add_f16_e32 v28, v41, v22
	v_sub_f16_e32 v22, v41, v22
	v_add_f16_e32 v29, v45, v30
	v_add_f16_e32 v41, v4, v21
	v_sub_f16_e32 v30, v45, v30
	v_sub_f16_e32 v4, v4, v21
	v_add_f16_e32 v21, v26, v53
	v_add_f16_e32 v42, v5, v7
	v_sub_f16_e32 v26, v53, v26
	;; [unrolled: 4-line block ×3, first 2 shown]
	v_sub_f16_e32 v44, v29, v27
	v_sub_f16_e32 v45, v41, v28
	;; [unrolled: 1-line block ×6, first 2 shown]
	v_add_f16_e32 v48, v26, v30
	v_add_f16_e32 v49, v5, v4
	v_sub_f16_e32 v50, v26, v30
	v_sub_f16_e32 v51, v5, v4
	v_add_f16_e32 v7, v21, v7
	v_add_f16_e32 v21, v42, v43
	v_sub_f16_e32 v30, v30, v6
	v_sub_f16_e32 v4, v4, v22
	;; [unrolled: 1-line block ×4, first 2 shown]
	v_add_f16_e32 v6, v48, v6
	v_add_f16_e32 v22, v49, v22
	;; [unrolled: 1-line block ×3, first 2 shown]
	v_add_f16_sdwa v25, v25, v21 dst_sel:DWORD dst_unused:UNUSED_PAD src0_sel:WORD_1 src1_sel:DWORD
	v_mul_f16_e32 v27, 0x3a52, v27
	v_mul_f16_e32 v28, 0x3a52, v28
	;; [unrolled: 1-line block ×8, first 2 shown]
	v_fmamk_f16 v7, v7, 0xbcab, v42
	v_fmamk_f16 v21, v21, 0xbcab, v25
	;; [unrolled: 1-line block ×4, first 2 shown]
	v_fma_f16 v43, v44, 0x39e0, -v43
	v_fma_f16 v48, v45, 0x39e0, -v48
	;; [unrolled: 1-line block ×4, first 2 shown]
	v_fmamk_f16 v44, v26, 0xb574, v49
	v_fmamk_f16 v45, v5, 0xb574, v50
	v_fma_f16 v30, v30, 0xbb00, -v49
	v_fma_f16 v4, v4, 0xbb00, -v50
	;; [unrolled: 1-line block ×4, first 2 shown]
	v_add_f16_e32 v29, v29, v7
	v_add_f16_e32 v41, v41, v21
	v_fmac_f16_e32 v44, 0xb70e, v6
	v_fmac_f16_e32 v45, 0xb70e, v22
	v_add_f16_e32 v43, v43, v7
	v_add_f16_e32 v48, v48, v21
	;; [unrolled: 1-line block ×4, first 2 shown]
	v_fmac_f16_e32 v30, 0xb70e, v6
	v_fmac_f16_e32 v5, 0xb70e, v22
	;; [unrolled: 1-line block ×4, first 2 shown]
	v_add_f16_e32 v6, v45, v29
	v_sub_f16_e32 v22, v41, v44
	v_add_f16_e32 v27, v5, v7
	v_sub_f16_e32 v28, v21, v26
	v_sub_f16_e32 v49, v43, v4
	v_add_f16_e32 v50, v30, v48
	v_add_f16_e32 v4, v4, v43
	v_sub_f16_e32 v30, v48, v30
	v_sub_f16_e32 v5, v7, v5
	v_add_f16_e32 v7, v26, v21
	v_sub_f16_e32 v21, v29, v45
	v_add_f16_e32 v26, v44, v41
	v_pack_b32_f16 v25, v42, v25
	v_pack_b32_f16 v6, v6, v22
	;; [unrolled: 1-line block ×7, first 2 shown]
	s_barrier
	buffer_gl0_inv
	ds_write2_b32 v60, v25, v6 offset1:34
	ds_write2_b32 v60, v22, v27 offset0:68 offset1:102
	ds_write2_b32 v60, v4, v5 offset0:136 offset1:170
	ds_write_b32 v60, v7 offset:816
	s_and_saveexec_b32 s1, s0
	s_cbranch_execz .LBB0_21
; %bb.20:
	v_mul_f16_sdwa v4, v0, v34 dst_sel:DWORD dst_unused:UNUSED_PAD src0_sel:WORD_1 src1_sel:DWORD
	v_mul_f16_sdwa v5, v20, v79 dst_sel:DWORD dst_unused:UNUSED_PAD src0_sel:WORD_1 src1_sel:DWORD
	;; [unrolled: 1-line block ×5, first 2 shown]
	v_fmac_f16_e32 v4, v0, v18
	v_fmac_f16_e32 v5, v20, v77
	v_mul_f16_sdwa v22, v19, v71 dst_sel:DWORD dst_unused:UNUSED_PAD src0_sel:WORD_1 src1_sel:DWORD
	v_fmac_f16_e32 v21, v1, v23
	v_mul_f16_sdwa v18, v0, v18 dst_sel:DWORD dst_unused:UNUSED_PAD src0_sel:WORD_1 src1_sel:DWORD
	v_fma_f16 v20, v20, v79, -v26
	v_mul_f16_sdwa v26, v19, v37 dst_sel:DWORD dst_unused:UNUSED_PAD src0_sel:WORD_1 src1_sel:DWORD
	v_mul_f16_sdwa v23, v1, v23 dst_sel:DWORD dst_unused:UNUSED_PAD src0_sel:WORD_1 src1_sel:DWORD
	;; [unrolled: 1-line block ×3, first 2 shown]
	v_fmac_f16_e32 v7, v2, v24
	v_fmac_f16_e32 v22, v19, v37
	v_fma_f16 v0, v0, v34, -v18
	v_mul_f16_sdwa v18, v2, v24 dst_sel:DWORD dst_unused:UNUSED_PAD src0_sel:WORD_1 src1_sel:DWORD
	v_mul_f16_sdwa v24, v3, v36 dst_sel:DWORD dst_unused:UNUSED_PAD src0_sel:WORD_1 src1_sel:DWORD
	v_fma_f16 v19, v19, v71, -v26
	v_fma_f16 v1, v1, v33, -v23
	v_fmac_f16_e32 v6, v3, v36
	v_fma_f16 v2, v2, v35, -v18
	v_fma_f16 v3, v3, v32, -v24
	v_add_f16_e32 v18, v20, v0
	v_add_f16_e32 v24, v19, v1
	v_sub_f16_e32 v25, v4, v5
	v_sub_f16_e32 v27, v6, v7
	;; [unrolled: 1-line block ×3, first 2 shown]
	v_add_f16_e32 v28, v3, v2
	v_add_f16_e32 v30, v24, v18
	;; [unrolled: 1-line block ×3, first 2 shown]
	v_sub_f16_e32 v29, v25, v27
	v_sub_f16_e32 v26, v27, v23
	v_add_f16_e32 v27, v27, v23
	v_add_f16_e32 v30, v28, v30
	;; [unrolled: 1-line block ×4, first 2 shown]
	v_sub_f16_e32 v2, v3, v2
	v_add_f16_e32 v21, v27, v25
	v_add_f16_e32 v31, v31, v30
	;; [unrolled: 1-line block ×3, first 2 shown]
	v_sub_f16_e32 v1, v1, v19
	v_sub_f16_e32 v0, v0, v20
	;; [unrolled: 1-line block ×3, first 2 shown]
	v_fmamk_f16 v7, v30, 0xbcab, v31
	v_sub_f16_e32 v30, v4, v6
	v_add_f16_e32 v27, v6, v27
	v_sub_f16_e32 v19, v2, v1
	v_sub_f16_e32 v34, v0, v2
	v_add_f16_e32 v2, v2, v1
	v_mul_f16_e32 v32, 0x3a52, v32
	v_sub_f16_e32 v28, v28, v24
	v_mul_f16_e32 v3, 0x3a52, v30
	v_sub_f16_e32 v6, v6, v5
	v_add_f16_e32 v17, v17, v27
	v_sub_f16_e32 v23, v23, v25
	v_add_f16_e32 v2, v2, v0
	v_sub_f16_e32 v0, v1, v0
	v_mul_f16_e32 v26, 0x3846, v26
	v_fmamk_f16 v22, v28, 0x2b26, v32
	v_mul_f16_e32 v28, 0x2b26, v28
	v_fmamk_f16 v30, v6, 0x2b26, v3
	v_fmamk_f16 v27, v27, 0xbcab, v17
	v_mul_f16_e32 v19, 0x3846, v19
	v_mul_f16_e32 v35, 0xbb00, v23
	v_sub_f16_e32 v18, v24, v18
	v_mul_f16_e32 v6, 0x2b26, v6
	v_sub_f16_e32 v4, v5, v4
	v_mul_f16_e32 v24, 0xbb00, v0
	v_fmamk_f16 v33, v29, 0xb574, v26
	v_add_f16_e32 v25, v30, v27
	v_fmamk_f16 v30, v34, 0xb574, v19
	v_fma_f16 v1, v29, 0x3574, -v35
	v_fma_f16 v5, v18, 0xb9e0, -v32
	;; [unrolled: 1-line block ×8, first 2 shown]
	v_fmac_f16_e32 v33, 0xb70e, v21
	v_add_f16_e32 v22, v22, v7
	v_fmac_f16_e32 v30, 0xb70e, v2
	v_fmac_f16_e32 v1, 0xb70e, v21
	v_add_f16_e32 v5, v5, v7
	v_add_f16_e32 v6, v18, v7
	v_mov_b32_e32 v18, 0xee
	v_add_f16_e32 v3, v3, v27
	v_fmac_f16_e32 v24, 0xb70e, v2
	v_fmac_f16_e32 v23, 0xb70e, v21
	v_fmac_f16_e32 v0, 0xb70e, v2
	v_add_f16_e32 v2, v4, v27
	v_add_f16_e32 v20, v33, v22
	;; [unrolled: 1-line block ×3, first 2 shown]
	v_sub_f16_e32 v1, v5, v1
	v_mul_u32_u24_sdwa v5, v47, v18 dst_sel:DWORD dst_unused:UNUSED_PAD src0_sel:WORD_0 src1_sel:DWORD
	v_sub_f16_e32 v18, v22, v33
	v_add_f16_e32 v22, v30, v25
	v_sub_f16_e32 v7, v3, v24
	v_sub_f16_e32 v19, v6, v23
	v_add_f16_e32 v21, v0, v2
	v_add_f16_e32 v6, v23, v6
	;; [unrolled: 1-line block ×3, first 2 shown]
	v_sub_f16_e32 v0, v2, v0
	v_sub_f16_e32 v29, v25, v30
	v_add_lshl_u32 v2, v5, v46, 2
	v_pack_b32_f16 v5, v17, v31
	v_pack_b32_f16 v17, v22, v18
	;; [unrolled: 1-line block ×7, first 2 shown]
	ds_write2_b32 v2, v5, v17 offset1:34
	ds_write2_b32 v2, v1, v0 offset0:68 offset1:102
	ds_write2_b32 v2, v3, v4 offset0:136 offset1:170
	ds_write_b32 v2, v6 offset:816
.LBB0_21:
	s_or_b32 exec_lo, exec_lo, s1
	v_add_nc_u32_e32 v21, 0x200, v40
	v_add_nc_u32_e32 v22, 0x600, v40
	;; [unrolled: 1-line block ×5, first 2 shown]
	s_waitcnt lgkmcnt(0)
	s_barrier
	buffer_gl0_inv
	ds_read2_b32 v[0:1], v40 offset1:119
	ds_read2_b32 v[2:3], v21 offset0:110 offset1:229
	ds_read2_b32 v[4:5], v22 offset0:92 offset1:211
	;; [unrolled: 1-line block ×5, first 2 shown]
	s_waitcnt lgkmcnt(4)
	v_lshrrev_b32_e32 v28, 16, v2
	s_waitcnt lgkmcnt(3)
	v_lshrrev_b32_e32 v29, 16, v4
	;; [unrolled: 2-line block ×4, first 2 shown]
	v_mul_f16_sdwa v41, v12, v2 dst_sel:DWORD dst_unused:UNUSED_PAD src0_sel:WORD_1 src1_sel:DWORD
	v_mul_f16_sdwa v44, v12, v28 dst_sel:DWORD dst_unused:UNUSED_PAD src0_sel:WORD_1 src1_sel:DWORD
	;; [unrolled: 1-line block ×3, first 2 shown]
	v_lshrrev_b32_e32 v33, 16, v3
	v_mul_f16_sdwa v42, v13, v4 dst_sel:DWORD dst_unused:UNUSED_PAD src0_sel:WORD_1 src1_sel:DWORD
	v_mul_f16_sdwa v43, v14, v6 dst_sel:DWORD dst_unused:UNUSED_PAD src0_sel:WORD_1 src1_sel:DWORD
	v_fma_f16 v28, v12, v28, -v41
	v_mul_f16_sdwa v41, v14, v30 dst_sel:DWORD dst_unused:UNUSED_PAD src0_sel:WORD_1 src1_sel:DWORD
	v_fmac_f16_e32 v44, v12, v2
	v_fmac_f16_e32 v45, v13, v4
	v_mul_f16_sdwa v2, v15, v31 dst_sel:DWORD dst_unused:UNUSED_PAD src0_sel:WORD_1 src1_sel:DWORD
	v_mul_f16_sdwa v4, v15, v17 dst_sel:DWORD dst_unused:UNUSED_PAD src0_sel:WORD_1 src1_sel:DWORD
	v_lshrrev_b32_e32 v34, 16, v5
	v_lshrrev_b32_e32 v35, 16, v7
	v_fmac_f16_e32 v41, v14, v6
	v_fma_f16 v6, v14, v30, -v43
	v_fmac_f16_e32 v2, v15, v17
	v_fma_f16 v4, v15, v31, -v4
	v_mul_f16_sdwa v14, v8, v33 dst_sel:DWORD dst_unused:UNUSED_PAD src0_sel:WORD_1 src1_sel:DWORD
	v_mul_f16_sdwa v15, v8, v3 dst_sel:DWORD dst_unused:UNUSED_PAD src0_sel:WORD_1 src1_sel:DWORD
	v_lshrrev_b32_e32 v36, 16, v18
	v_mul_f16_sdwa v17, v9, v34 dst_sel:DWORD dst_unused:UNUSED_PAD src0_sel:WORD_1 src1_sel:DWORD
	s_waitcnt lgkmcnt(0)
	v_lshrrev_b32_e32 v32, 16, v19
	v_fmac_f16_e32 v14, v8, v3
	v_mul_f16_sdwa v3, v9, v5 dst_sel:DWORD dst_unused:UNUSED_PAD src0_sel:WORD_1 src1_sel:DWORD
	v_fma_f16 v8, v8, v33, -v15
	v_mul_f16_sdwa v15, v10, v35 dst_sel:DWORD dst_unused:UNUSED_PAD src0_sel:WORD_1 src1_sel:DWORD
	v_lshrrev_b32_e32 v37, 16, v20
	v_fmac_f16_e32 v17, v9, v5
	v_mul_f16_sdwa v5, v10, v7 dst_sel:DWORD dst_unused:UNUSED_PAD src0_sel:WORD_1 src1_sel:DWORD
	v_fma_f16 v3, v9, v34, -v3
	v_mul_f16_sdwa v9, v11, v36 dst_sel:DWORD dst_unused:UNUSED_PAD src0_sel:WORD_1 src1_sel:DWORD
	v_fmac_f16_e32 v15, v10, v7
	v_mul_f16_sdwa v7, v11, v18 dst_sel:DWORD dst_unused:UNUSED_PAD src0_sel:WORD_1 src1_sel:DWORD
	v_fma_f16 v29, v13, v29, -v42
	v_mul_f16_sdwa v12, v62, v32 dst_sel:DWORD dst_unused:UNUSED_PAD src0_sel:WORD_1 src1_sel:DWORD
	v_mul_f16_sdwa v13, v62, v19 dst_sel:DWORD dst_unused:UNUSED_PAD src0_sel:WORD_1 src1_sel:DWORD
	v_fma_f16 v5, v10, v35, -v5
	v_mul_f16_sdwa v10, v61, v37 dst_sel:DWORD dst_unused:UNUSED_PAD src0_sel:WORD_1 src1_sel:DWORD
	v_fmac_f16_e32 v9, v11, v18
	v_fma_f16 v7, v11, v36, -v7
	v_add_f16_e32 v11, v45, v2
	v_lshrrev_b32_e32 v26, 16, v0
	v_fmac_f16_e32 v12, v62, v19
	v_fma_f16 v13, v62, v32, -v13
	v_mul_f16_sdwa v18, v61, v20 dst_sel:DWORD dst_unused:UNUSED_PAD src0_sel:WORD_1 src1_sel:DWORD
	v_fmac_f16_e32 v10, v61, v20
	v_add_f16_e32 v19, v0, v45
	v_add_f16_e32 v20, v29, v4
	v_fma_f16 v0, -0.5, v11, v0
	v_sub_f16_e32 v11, v29, v4
	v_add_f16_e32 v29, v26, v29
	v_add_f16_e32 v19, v19, v2
	v_fmac_f16_e32 v26, -0.5, v20
	v_sub_f16_e32 v2, v45, v2
	v_fmamk_f16 v20, v11, 0xbaee, v0
	v_fmac_f16_e32 v0, 0x3aee, v11
	v_add_f16_e32 v11, v6, v13
	v_add_f16_e32 v30, v41, v12
	v_add_f16_e32 v31, v28, v6
	v_add_f16_e32 v4, v29, v4
	v_fmamk_f16 v29, v2, 0x3aee, v26
	v_fmac_f16_e32 v28, -0.5, v11
	v_sub_f16_e32 v11, v41, v12
	v_add_f16_e32 v32, v44, v41
	v_fmac_f16_e32 v44, -0.5, v30
	v_sub_f16_e32 v6, v6, v13
	v_fmac_f16_e32 v26, 0xbaee, v2
	v_fmamk_f16 v2, v11, 0x3aee, v28
	v_fmac_f16_e32 v28, 0xbaee, v11
	v_add_f16_e32 v13, v31, v13
	v_add_f16_e32 v11, v32, v12
	v_fmamk_f16 v12, v6, 0xbaee, v44
	v_fmac_f16_e32 v44, 0x3aee, v6
	v_mul_f16_e32 v6, 0xbaee, v2
	v_mul_f16_e32 v30, 0xbaee, v28
	v_mul_f16_e32 v28, -0.5, v28
	v_add_f16_e32 v33, v4, v13
	v_sub_f16_e32 v4, v4, v13
	v_add_f16_e32 v13, v17, v9
	v_lshrrev_b32_e32 v27, 16, v1
	v_fma_f16 v18, v61, v37, -v18
	v_mul_f16_e32 v2, 0.5, v2
	v_fmac_f16_e32 v6, 0.5, v12
	v_add_f16_e32 v31, v19, v11
	v_fmac_f16_e32 v28, 0x3aee, v44
	v_sub_f16_e32 v11, v19, v11
	v_add_f16_e32 v19, v1, v17
	v_fmac_f16_e32 v1, -0.5, v13
	v_sub_f16_e32 v13, v3, v7
	v_fmac_f16_e32 v2, 0x3aee, v12
	v_add_f16_e32 v12, v20, v6
	v_add_f16_e32 v35, v26, v28
	v_sub_f16_e32 v6, v20, v6
	v_sub_f16_e32 v20, v26, v28
	v_add_f16_e32 v26, v3, v7
	v_add_f16_e32 v19, v19, v9
	v_sub_f16_e32 v9, v17, v9
	v_fmamk_f16 v17, v13, 0xbaee, v1
	v_fmac_f16_e32 v1, 0x3aee, v13
	v_add_f16_e32 v13, v5, v18
	v_add_f16_e32 v3, v27, v3
	v_fmac_f16_e32 v27, -0.5, v26
	v_add_f16_e32 v26, v15, v10
	v_add_f16_e32 v28, v8, v5
	v_fmac_f16_e32 v8, -0.5, v13
	v_sub_f16_e32 v13, v15, v10
	v_add_f16_e32 v3, v3, v7
	v_fmamk_f16 v7, v9, 0x3aee, v27
	v_add_f16_e32 v15, v14, v15
	v_fmac_f16_e32 v14, -0.5, v26
	v_sub_f16_e32 v5, v5, v18
	v_fmac_f16_e32 v27, 0xbaee, v9
	v_fmamk_f16 v9, v13, 0x3aee, v8
	v_fmac_f16_e32 v8, 0xbaee, v13
	v_add_f16_e32 v10, v15, v10
	v_fmamk_f16 v13, v5, 0xbaee, v14
	v_fmac_f16_e32 v14, 0x3aee, v5
	v_mul_f16_e32 v5, 0xbaee, v9
	v_mul_f16_e32 v9, 0.5, v9
	v_mul_f16_e32 v15, 0xbaee, v8
	v_add_f16_e32 v18, v28, v18
	v_mul_f16_e32 v8, -0.5, v8
	v_fmac_f16_e32 v5, 0.5, v13
	v_fmac_f16_e32 v9, 0x3aee, v13
	v_fmac_f16_e32 v30, -0.5, v44
	v_fmac_f16_e32 v15, -0.5, v14
	v_add_f16_e32 v26, v19, v10
	v_fmac_f16_e32 v8, 0x3aee, v14
	v_add_f16_e32 v28, v3, v18
	v_add_f16_e32 v34, v29, v2
	v_sub_f16_e32 v2, v29, v2
	v_add_f16_e32 v13, v17, v5
	v_add_f16_e32 v29, v7, v9
	;; [unrolled: 1-line block ×3, first 2 shown]
	v_sub_f16_e32 v0, v0, v30
	v_add_f16_e32 v14, v1, v15
	v_add_f16_e32 v30, v27, v8
	v_sub_f16_e32 v1, v1, v15
	v_sub_f16_e32 v7, v7, v9
	v_pack_b32_f16 v9, v31, v33
	v_pack_b32_f16 v15, v26, v28
	v_sub_f16_e32 v10, v19, v10
	v_sub_f16_e32 v3, v3, v18
	;; [unrolled: 1-line block ×4, first 2 shown]
	v_pack_b32_f16 v12, v12, v34
	v_pack_b32_f16 v2, v6, v2
	;; [unrolled: 1-line block ×4, first 2 shown]
	ds_write2_b32 v40, v9, v15 offset1:119
	v_pack_b32_f16 v9, v14, v30
	v_pack_b32_f16 v4, v11, v4
	;; [unrolled: 1-line block ×6, first 2 shown]
	ds_write2_b32 v21, v12, v6 offset0:110 offset1:229
	ds_write2_b32 v22, v17, v9 offset0:92 offset1:211
	;; [unrolled: 1-line block ×5, first 2 shown]
	s_waitcnt lgkmcnt(0)
	s_barrier
	buffer_gl0_inv
	s_and_b32 exec_lo, exec_lo, vcc_lo
	s_cbranch_execz .LBB0_23
; %bb.22:
	global_load_dword v0, v38, s[8:9]
	ds_read_b32 v1, v40
	s_mov_b32 s12, 0x16f26017
	s_mov_b32 s13, 0x3f46f260
	v_mad_u64_u32 v[6:7], null, s4, v39, 0
	s_mul_hi_u32 s3, s4, 0x150
	s_mulk_i32 s4, 0x150
	s_waitcnt lgkmcnt(0)
	v_lshrrev_b32_e32 v2, 16, v1
	s_waitcnt vmcnt(0)
	v_mul_f16_sdwa v3, v2, v0 dst_sel:DWORD dst_unused:UNUSED_PAD src0_sel:DWORD src1_sel:WORD_1
	v_mul_f16_sdwa v4, v1, v0 dst_sel:DWORD dst_unused:UNUSED_PAD src0_sel:DWORD src1_sel:WORD_1
	v_fmac_f16_e32 v3, v1, v0
	v_fma_f16 v0, v0, v2, -v4
	v_mad_u64_u32 v[4:5], null, s6, v16, 0
	v_cvt_f32_f16_e32 v1, v3
	v_cvt_f32_f16_e32 v2, v0
	v_cvt_f64_f32_e32 v[0:1], v1
	v_cvt_f64_f32_e32 v[2:3], v2
	v_mul_f64 v[0:1], v[0:1], s[12:13]
	v_mul_f64 v[2:3], v[2:3], s[12:13]
	v_and_or_b32 v0, 0x1ff, v1, v0
	v_and_or_b32 v2, 0x1ff, v3, v2
	v_lshrrev_b32_e32 v8, 8, v1
	v_bfe_u32 v10, v1, 20, 11
	v_lshrrev_b32_e32 v9, 8, v3
	v_cmp_ne_u32_e32 vcc_lo, 0, v0
	v_bfe_u32 v11, v3, 20, 11
	v_mov_b32_e32 v0, v7
	v_sub_nc_u32_e32 v13, 0x3f1, v10
	v_add_nc_u32_e32 v10, 0xfffffc10, v10
	v_cndmask_b32_e64 v12, 0, 1, vcc_lo
	v_cmp_ne_u32_e32 vcc_lo, 0, v2
	v_sub_nc_u32_e32 v14, 0x3f1, v11
	v_med3_i32 v13, v13, 0, 13
	v_add_nc_u32_e32 v11, 0xfffffc10, v11
	v_and_or_b32 v12, 0xffe, v8, v12
	v_cndmask_b32_e64 v2, 0, 1, vcc_lo
	v_mad_u64_u32 v[7:8], null, s7, v16, v[5:6]
	v_med3_i32 v14, v14, 0, 13
	v_or_b32_e32 v15, 0x1000, v12
	v_and_or_b32 v2, 0xffe, v9, v2
	v_mad_u64_u32 v[8:9], null, s5, v39, v[0:1]
	v_lshrrev_b32_e32 v3, 16, v3
	v_lshrrev_b32_e32 v0, v13, v15
	v_or_b32_e32 v16, 0x1000, v2
	v_mov_b32_e32 v5, v7
	v_mov_b32_e32 v7, v8
	v_lshrrev_b32_e32 v9, v14, v16
	v_lshlrev_b32_e32 v13, v13, v0
	v_lshlrev_b64 v[4:5], 2, v[4:5]
	v_lshlrev_b32_e32 v8, v14, v9
	v_cmp_ne_u32_e32 vcc_lo, v13, v15
	v_lshl_or_b32 v14, v10, 12, v12
	v_cndmask_b32_e64 v13, 0, 1, vcc_lo
	v_cmp_ne_u32_e32 vcc_lo, v8, v16
	v_or_b32_e32 v0, v0, v13
	v_cndmask_b32_e64 v8, 0, 1, vcc_lo
	v_cmp_gt_i32_e32 vcc_lo, 1, v10
	v_lshl_or_b32 v13, v11, 12, v2
	v_or_b32_e32 v8, v9, v8
	v_cndmask_b32_e32 v0, v14, v0, vcc_lo
	v_cmp_gt_i32_e32 vcc_lo, 1, v11
	v_lshrrev_b32_e32 v9, 16, v1
	v_cndmask_b32_e32 v1, v13, v8, vcc_lo
	v_cmp_ne_u32_e32 vcc_lo, 0, v12
	v_and_b32_e32 v12, 7, v0
	v_lshrrev_b32_e32 v0, 2, v0
	v_and_b32_e32 v13, 7, v1
	v_cndmask_b32_e64 v8, 0, 1, vcc_lo
	v_cmp_ne_u32_e32 vcc_lo, 0, v2
	v_cmp_eq_u32_e64 s0, 3, v12
	v_lshrrev_b32_e32 v1, 2, v1
	v_cmp_lt_i32_e64 s1, 5, v13
	v_cmp_eq_u32_e64 s2, 3, v13
	v_cndmask_b32_e64 v2, 0, 1, vcc_lo
	v_cmp_lt_i32_e32 vcc_lo, 5, v12
	v_lshl_or_b32 v8, v8, 9, 0x7c00
	v_lshl_or_b32 v2, v2, 9, 0x7c00
	s_or_b32 vcc_lo, s0, vcc_lo
	v_add_co_ci_u32_e32 v0, vcc_lo, 0, v0, vcc_lo
	s_or_b32 vcc_lo, s2, s1
	v_add_co_ci_u32_e32 v1, vcc_lo, 0, v1, vcc_lo
	v_cmp_gt_i32_e32 vcc_lo, 31, v10
	v_cndmask_b32_e32 v0, 0x7c00, v0, vcc_lo
	v_cmp_gt_i32_e32 vcc_lo, 31, v11
	v_cndmask_b32_e32 v12, 0x7c00, v1, vcc_lo
	v_cmp_eq_u32_e32 vcc_lo, 0x40f, v10
	v_cndmask_b32_e32 v8, v0, v8, vcc_lo
	v_cmp_eq_u32_e32 vcc_lo, 0x40f, v11
	v_lshlrev_b64 v[0:1], 2, v[6:7]
	v_and_or_b32 v6, 0x8000, v9, v8
	v_cndmask_b32_e32 v2, v12, v2, vcc_lo
	v_add_co_u32 v4, vcc_lo, s10, v4
	v_add_co_ci_u32_e32 v5, vcc_lo, s11, v5, vcc_lo
	v_and_or_b32 v2, 0x8000, v3, v2
	v_and_b32_e32 v3, 0xffff, v6
	v_add_co_u32 v0, vcc_lo, v4, v0
	v_add_co_ci_u32_e32 v1, vcc_lo, v5, v1, vcc_lo
	v_lshl_or_b32 v2, v2, 16, v3
	global_store_dword v[0:1], v2, off
	global_load_dword v4, v38, s[8:9] offset:336
	ds_read2_b32 v[2:3], v38 offset0:84 offset1:168
	s_waitcnt lgkmcnt(0)
	v_lshrrev_b32_e32 v5, 16, v2
	s_waitcnt vmcnt(0)
	v_mul_f16_sdwa v6, v5, v4 dst_sel:DWORD dst_unused:UNUSED_PAD src0_sel:DWORD src1_sel:WORD_1
	v_mul_f16_sdwa v7, v2, v4 dst_sel:DWORD dst_unused:UNUSED_PAD src0_sel:DWORD src1_sel:WORD_1
	v_fmac_f16_e32 v6, v2, v4
	v_fma_f16 v2, v4, v5, -v7
	v_cvt_f32_f16_e32 v4, v6
	v_cvt_f32_f16_e32 v2, v2
	v_cvt_f64_f32_e32 v[4:5], v4
	v_cvt_f64_f32_e32 v[6:7], v2
	v_mul_f64 v[4:5], v[4:5], s[12:13]
	v_mul_f64 v[6:7], v[6:7], s[12:13]
	v_and_or_b32 v2, 0x1ff, v5, v4
	v_and_or_b32 v6, 0x1ff, v7, v6
	v_lshrrev_b32_e32 v4, 8, v5
	v_bfe_u32 v8, v5, 20, 11
	v_lshrrev_b32_e32 v9, 8, v7
	v_cmp_ne_u32_e32 vcc_lo, 0, v2
	v_bfe_u32 v10, v7, 20, 11
	v_lshrrev_b32_e32 v5, 16, v5
	v_sub_nc_u32_e32 v11, 0x3f1, v8
	v_add_nc_u32_e32 v8, 0xfffffc10, v8
	v_cndmask_b32_e64 v2, 0, 1, vcc_lo
	v_cmp_ne_u32_e32 vcc_lo, 0, v6
	v_lshrrev_b32_e32 v7, 16, v7
	v_and_or_b32 v2, 0xffe, v4, v2
	v_cndmask_b32_e64 v6, 0, 1, vcc_lo
	v_sub_nc_u32_e32 v4, 0x3f1, v10
	v_add_nc_u32_e32 v10, 0xfffffc10, v10
	v_and_or_b32 v6, 0xffe, v9, v6
	v_med3_i32 v9, v11, 0, 13
	v_or_b32_e32 v11, 0x1000, v2
	v_med3_i32 v4, v4, 0, 13
	v_or_b32_e32 v12, 0x1000, v6
	v_lshrrev_b32_e32 v13, v9, v11
	v_lshrrev_b32_e32 v14, v4, v12
	v_lshlrev_b32_e32 v9, v9, v13
	v_lshlrev_b32_e32 v4, v4, v14
	v_cmp_ne_u32_e32 vcc_lo, v9, v11
	v_lshl_or_b32 v11, v8, 12, v2
	v_cndmask_b32_e64 v9, 0, 1, vcc_lo
	v_cmp_ne_u32_e32 vcc_lo, v4, v12
	v_lshl_or_b32 v12, v10, 12, v6
	v_or_b32_e32 v9, v13, v9
	v_cndmask_b32_e64 v4, 0, 1, vcc_lo
	v_cmp_gt_i32_e32 vcc_lo, 1, v8
	v_or_b32_e32 v4, v14, v4
	v_cndmask_b32_e32 v9, v11, v9, vcc_lo
	v_cmp_gt_i32_e32 vcc_lo, 1, v10
	v_and_b32_e32 v11, 7, v9
	v_cndmask_b32_e32 v4, v12, v4, vcc_lo
	v_cmp_ne_u32_e32 vcc_lo, 0, v2
	v_lshrrev_b32_e32 v9, 2, v9
	v_cmp_eq_u32_e64 s0, 3, v11
	v_and_b32_e32 v12, 7, v4
	v_cndmask_b32_e64 v2, 0, 1, vcc_lo
	v_cmp_ne_u32_e32 vcc_lo, 0, v6
	v_lshrrev_b32_e32 v4, 2, v4
	v_cmp_lt_i32_e64 s1, 5, v12
	v_cmp_eq_u32_e64 s2, 3, v12
	v_cndmask_b32_e64 v6, 0, 1, vcc_lo
	v_cmp_lt_i32_e32 vcc_lo, 5, v11
	v_lshl_or_b32 v2, v2, 9, 0x7c00
	v_lshl_or_b32 v6, v6, 9, 0x7c00
	s_or_b32 vcc_lo, s0, vcc_lo
	s_mul_i32 s0, s5, 0x150
	v_add_co_ci_u32_e32 v9, vcc_lo, 0, v9, vcc_lo
	s_or_b32 vcc_lo, s2, s1
	s_add_i32 s3, s3, s0
	v_add_co_ci_u32_e32 v4, vcc_lo, 0, v4, vcc_lo
	v_cmp_gt_i32_e32 vcc_lo, 31, v8
	v_cndmask_b32_e32 v9, 0x7c00, v9, vcc_lo
	v_cmp_gt_i32_e32 vcc_lo, 31, v10
	v_cndmask_b32_e32 v4, 0x7c00, v4, vcc_lo
	v_cmp_eq_u32_e32 vcc_lo, 0x40f, v8
	v_cndmask_b32_e32 v2, v9, v2, vcc_lo
	v_cmp_eq_u32_e32 vcc_lo, 0x40f, v10
	v_and_or_b32 v2, 0x8000, v5, v2
	v_cndmask_b32_e32 v4, v4, v6, vcc_lo
	v_add_co_u32 v0, vcc_lo, v0, s4
	v_add_co_ci_u32_e32 v1, vcc_lo, s3, v1, vcc_lo
	v_and_or_b32 v4, 0x8000, v7, v4
	v_and_b32_e32 v2, 0xffff, v2
	v_lshl_or_b32 v2, v4, 16, v2
	v_lshrrev_b32_e32 v4, 16, v3
	global_store_dword v[0:1], v2, off
	global_load_dword v2, v38, s[8:9] offset:672
	s_waitcnt vmcnt(0)
	v_mul_f16_sdwa v5, v4, v2 dst_sel:DWORD dst_unused:UNUSED_PAD src0_sel:DWORD src1_sel:WORD_1
	v_mul_f16_sdwa v6, v3, v2 dst_sel:DWORD dst_unused:UNUSED_PAD src0_sel:DWORD src1_sel:WORD_1
	v_fmac_f16_e32 v5, v3, v2
	v_fma_f16 v2, v2, v4, -v6
	v_cvt_f32_f16_e32 v3, v5
	v_cvt_f32_f16_e32 v4, v2
	v_cvt_f64_f32_e32 v[2:3], v3
	v_cvt_f64_f32_e32 v[4:5], v4
	v_mul_f64 v[2:3], v[2:3], s[12:13]
	v_mul_f64 v[4:5], v[4:5], s[12:13]
	v_and_or_b32 v2, 0x1ff, v3, v2
	v_and_or_b32 v4, 0x1ff, v5, v4
	v_lshrrev_b32_e32 v6, 8, v3
	v_bfe_u32 v7, v3, 20, 11
	v_lshrrev_b32_e32 v8, 8, v5
	v_cmp_ne_u32_e32 vcc_lo, 0, v2
	v_bfe_u32 v9, v5, 20, 11
	v_lshrrev_b32_e32 v3, 16, v3
	v_sub_nc_u32_e32 v10, 0x3f1, v7
	v_add_nc_u32_e32 v7, 0xfffffc10, v7
	v_cndmask_b32_e64 v2, 0, 1, vcc_lo
	v_cmp_ne_u32_e32 vcc_lo, 0, v4
	v_lshrrev_b32_e32 v5, 16, v5
	v_and_or_b32 v2, 0xffe, v6, v2
	v_cndmask_b32_e64 v4, 0, 1, vcc_lo
	v_sub_nc_u32_e32 v6, 0x3f1, v9
	v_add_nc_u32_e32 v9, 0xfffffc10, v9
	v_and_or_b32 v4, 0xffe, v8, v4
	v_med3_i32 v8, v10, 0, 13
	v_or_b32_e32 v10, 0x1000, v2
	v_med3_i32 v6, v6, 0, 13
	v_or_b32_e32 v11, 0x1000, v4
	v_lshrrev_b32_e32 v12, v8, v10
	v_lshrrev_b32_e32 v13, v6, v11
	v_lshlrev_b32_e32 v8, v8, v12
	v_lshlrev_b32_e32 v6, v6, v13
	v_cmp_ne_u32_e32 vcc_lo, v8, v10
	v_lshl_or_b32 v10, v7, 12, v2
	v_cndmask_b32_e64 v8, 0, 1, vcc_lo
	v_cmp_ne_u32_e32 vcc_lo, v6, v11
	v_lshl_or_b32 v11, v9, 12, v4
	v_or_b32_e32 v8, v12, v8
	v_cndmask_b32_e64 v6, 0, 1, vcc_lo
	v_cmp_gt_i32_e32 vcc_lo, 1, v7
	v_or_b32_e32 v6, v13, v6
	v_cndmask_b32_e32 v8, v10, v8, vcc_lo
	v_cmp_gt_i32_e32 vcc_lo, 1, v9
	v_and_b32_e32 v10, 7, v8
	v_cndmask_b32_e32 v6, v11, v6, vcc_lo
	v_cmp_ne_u32_e32 vcc_lo, 0, v2
	v_lshrrev_b32_e32 v8, 2, v8
	v_cmp_eq_u32_e64 s0, 3, v10
	v_and_b32_e32 v11, 7, v6
	v_cndmask_b32_e64 v2, 0, 1, vcc_lo
	v_cmp_ne_u32_e32 vcc_lo, 0, v4
	v_lshrrev_b32_e32 v6, 2, v6
	v_cmp_lt_i32_e64 s1, 5, v11
	v_cmp_eq_u32_e64 s2, 3, v11
	v_cndmask_b32_e64 v4, 0, 1, vcc_lo
	v_cmp_lt_i32_e32 vcc_lo, 5, v10
	v_lshl_or_b32 v2, v2, 9, 0x7c00
	v_lshl_or_b32 v4, v4, 9, 0x7c00
	s_or_b32 vcc_lo, s0, vcc_lo
	v_add_co_ci_u32_e32 v8, vcc_lo, 0, v8, vcc_lo
	s_or_b32 vcc_lo, s2, s1
	v_add_co_ci_u32_e32 v6, vcc_lo, 0, v6, vcc_lo
	v_cmp_gt_i32_e32 vcc_lo, 31, v7
	v_cndmask_b32_e32 v8, 0x7c00, v8, vcc_lo
	v_cmp_gt_i32_e32 vcc_lo, 31, v9
	v_cndmask_b32_e32 v6, 0x7c00, v6, vcc_lo
	v_cmp_eq_u32_e32 vcc_lo, 0x40f, v7
	v_cndmask_b32_e32 v2, v8, v2, vcc_lo
	v_cmp_eq_u32_e32 vcc_lo, 0x40f, v9
	v_and_or_b32 v2, 0x8000, v3, v2
	v_cndmask_b32_e32 v4, v6, v4, vcc_lo
	v_add_co_u32 v0, vcc_lo, v0, s4
	v_add_co_ci_u32_e32 v1, vcc_lo, s3, v1, vcc_lo
	v_and_or_b32 v3, 0x8000, v5, v4
	v_and_b32_e32 v2, 0xffff, v2
	v_lshl_or_b32 v2, v3, 16, v2
	global_store_dword v[0:1], v2, off
	global_load_dword v4, v38, s[8:9] offset:1008
	v_add_nc_u32_e32 v2, 0x200, v38
	ds_read2_b32 v[2:3], v2 offset0:124 offset1:208
	s_waitcnt lgkmcnt(0)
	v_lshrrev_b32_e32 v5, 16, v2
	s_waitcnt vmcnt(0)
	v_mul_f16_sdwa v6, v5, v4 dst_sel:DWORD dst_unused:UNUSED_PAD src0_sel:DWORD src1_sel:WORD_1
	v_mul_f16_sdwa v7, v2, v4 dst_sel:DWORD dst_unused:UNUSED_PAD src0_sel:DWORD src1_sel:WORD_1
	v_fmac_f16_e32 v6, v2, v4
	v_fma_f16 v2, v4, v5, -v7
	v_cvt_f32_f16_e32 v4, v6
	v_cvt_f32_f16_e32 v2, v2
	v_cvt_f64_f32_e32 v[4:5], v4
	v_cvt_f64_f32_e32 v[6:7], v2
	v_mul_f64 v[4:5], v[4:5], s[12:13]
	v_mul_f64 v[6:7], v[6:7], s[12:13]
	v_and_or_b32 v2, 0x1ff, v5, v4
	v_and_or_b32 v6, 0x1ff, v7, v6
	v_lshrrev_b32_e32 v4, 8, v5
	v_bfe_u32 v8, v5, 20, 11
	v_lshrrev_b32_e32 v9, 8, v7
	v_cmp_ne_u32_e32 vcc_lo, 0, v2
	v_bfe_u32 v10, v7, 20, 11
	v_lshrrev_b32_e32 v5, 16, v5
	v_sub_nc_u32_e32 v11, 0x3f1, v8
	v_add_nc_u32_e32 v8, 0xfffffc10, v8
	v_cndmask_b32_e64 v2, 0, 1, vcc_lo
	v_cmp_ne_u32_e32 vcc_lo, 0, v6
	v_lshrrev_b32_e32 v7, 16, v7
	v_and_or_b32 v2, 0xffe, v4, v2
	v_cndmask_b32_e64 v6, 0, 1, vcc_lo
	v_sub_nc_u32_e32 v4, 0x3f1, v10
	v_add_nc_u32_e32 v10, 0xfffffc10, v10
	v_and_or_b32 v6, 0xffe, v9, v6
	v_med3_i32 v9, v11, 0, 13
	v_or_b32_e32 v11, 0x1000, v2
	v_med3_i32 v4, v4, 0, 13
	v_or_b32_e32 v12, 0x1000, v6
	v_lshrrev_b32_e32 v13, v9, v11
	v_lshrrev_b32_e32 v14, v4, v12
	v_lshlrev_b32_e32 v9, v9, v13
	v_lshlrev_b32_e32 v4, v4, v14
	v_cmp_ne_u32_e32 vcc_lo, v9, v11
	v_lshl_or_b32 v11, v8, 12, v2
	v_cndmask_b32_e64 v9, 0, 1, vcc_lo
	v_cmp_ne_u32_e32 vcc_lo, v4, v12
	v_lshl_or_b32 v12, v10, 12, v6
	v_or_b32_e32 v9, v13, v9
	v_cndmask_b32_e64 v4, 0, 1, vcc_lo
	v_cmp_gt_i32_e32 vcc_lo, 1, v8
	v_or_b32_e32 v4, v14, v4
	v_cndmask_b32_e32 v9, v11, v9, vcc_lo
	v_cmp_gt_i32_e32 vcc_lo, 1, v10
	v_and_b32_e32 v11, 7, v9
	v_cndmask_b32_e32 v4, v12, v4, vcc_lo
	v_cmp_ne_u32_e32 vcc_lo, 0, v2
	v_lshrrev_b32_e32 v9, 2, v9
	v_cmp_eq_u32_e64 s0, 3, v11
	v_and_b32_e32 v12, 7, v4
	v_cndmask_b32_e64 v2, 0, 1, vcc_lo
	v_cmp_ne_u32_e32 vcc_lo, 0, v6
	v_lshrrev_b32_e32 v4, 2, v4
	v_cmp_lt_i32_e64 s1, 5, v12
	v_cmp_eq_u32_e64 s2, 3, v12
	v_cndmask_b32_e64 v6, 0, 1, vcc_lo
	v_cmp_lt_i32_e32 vcc_lo, 5, v11
	v_lshl_or_b32 v2, v2, 9, 0x7c00
	v_lshl_or_b32 v6, v6, 9, 0x7c00
	s_or_b32 vcc_lo, s0, vcc_lo
	v_add_co_ci_u32_e32 v9, vcc_lo, 0, v9, vcc_lo
	s_or_b32 vcc_lo, s2, s1
	v_add_co_ci_u32_e32 v4, vcc_lo, 0, v4, vcc_lo
	v_cmp_gt_i32_e32 vcc_lo, 31, v8
	v_cndmask_b32_e32 v9, 0x7c00, v9, vcc_lo
	v_cmp_gt_i32_e32 vcc_lo, 31, v10
	v_cndmask_b32_e32 v4, 0x7c00, v4, vcc_lo
	v_cmp_eq_u32_e32 vcc_lo, 0x40f, v8
	v_cndmask_b32_e32 v2, v9, v2, vcc_lo
	v_cmp_eq_u32_e32 vcc_lo, 0x40f, v10
	v_and_or_b32 v2, 0x8000, v5, v2
	v_cndmask_b32_e32 v4, v4, v6, vcc_lo
	v_add_co_u32 v0, vcc_lo, v0, s4
	v_add_co_ci_u32_e32 v1, vcc_lo, s3, v1, vcc_lo
	v_and_or_b32 v4, 0x8000, v7, v4
	v_and_b32_e32 v2, 0xffff, v2
	v_lshl_or_b32 v2, v4, 16, v2
	v_lshrrev_b32_e32 v4, 16, v3
	global_store_dword v[0:1], v2, off
	global_load_dword v2, v38, s[8:9] offset:1344
	s_waitcnt vmcnt(0)
	v_mul_f16_sdwa v5, v4, v2 dst_sel:DWORD dst_unused:UNUSED_PAD src0_sel:DWORD src1_sel:WORD_1
	v_mul_f16_sdwa v6, v3, v2 dst_sel:DWORD dst_unused:UNUSED_PAD src0_sel:DWORD src1_sel:WORD_1
	v_fmac_f16_e32 v5, v3, v2
	v_fma_f16 v2, v2, v4, -v6
	v_cvt_f32_f16_e32 v3, v5
	v_cvt_f32_f16_e32 v4, v2
	v_cvt_f64_f32_e32 v[2:3], v3
	v_cvt_f64_f32_e32 v[4:5], v4
	v_mul_f64 v[2:3], v[2:3], s[12:13]
	v_mul_f64 v[4:5], v[4:5], s[12:13]
	v_and_or_b32 v2, 0x1ff, v3, v2
	v_and_or_b32 v4, 0x1ff, v5, v4
	v_lshrrev_b32_e32 v6, 8, v3
	v_bfe_u32 v7, v3, 20, 11
	v_lshrrev_b32_e32 v8, 8, v5
	v_cmp_ne_u32_e32 vcc_lo, 0, v2
	v_bfe_u32 v9, v5, 20, 11
	v_lshrrev_b32_e32 v3, 16, v3
	v_sub_nc_u32_e32 v10, 0x3f1, v7
	v_add_nc_u32_e32 v7, 0xfffffc10, v7
	v_cndmask_b32_e64 v2, 0, 1, vcc_lo
	v_cmp_ne_u32_e32 vcc_lo, 0, v4
	v_lshrrev_b32_e32 v5, 16, v5
	v_and_or_b32 v2, 0xffe, v6, v2
	v_cndmask_b32_e64 v4, 0, 1, vcc_lo
	v_sub_nc_u32_e32 v6, 0x3f1, v9
	v_add_nc_u32_e32 v9, 0xfffffc10, v9
	v_and_or_b32 v4, 0xffe, v8, v4
	v_med3_i32 v8, v10, 0, 13
	v_or_b32_e32 v10, 0x1000, v2
	v_med3_i32 v6, v6, 0, 13
	v_or_b32_e32 v11, 0x1000, v4
	v_lshrrev_b32_e32 v12, v8, v10
	v_lshrrev_b32_e32 v13, v6, v11
	v_lshlrev_b32_e32 v8, v8, v12
	v_lshlrev_b32_e32 v6, v6, v13
	v_cmp_ne_u32_e32 vcc_lo, v8, v10
	v_lshl_or_b32 v10, v7, 12, v2
	v_cndmask_b32_e64 v8, 0, 1, vcc_lo
	v_cmp_ne_u32_e32 vcc_lo, v6, v11
	v_lshl_or_b32 v11, v9, 12, v4
	v_or_b32_e32 v8, v12, v8
	v_cndmask_b32_e64 v6, 0, 1, vcc_lo
	v_cmp_gt_i32_e32 vcc_lo, 1, v7
	v_or_b32_e32 v6, v13, v6
	v_cndmask_b32_e32 v8, v10, v8, vcc_lo
	v_cmp_gt_i32_e32 vcc_lo, 1, v9
	v_and_b32_e32 v10, 7, v8
	v_cndmask_b32_e32 v6, v11, v6, vcc_lo
	v_cmp_ne_u32_e32 vcc_lo, 0, v2
	v_lshrrev_b32_e32 v8, 2, v8
	v_cmp_eq_u32_e64 s0, 3, v10
	v_and_b32_e32 v11, 7, v6
	v_cndmask_b32_e64 v2, 0, 1, vcc_lo
	v_cmp_ne_u32_e32 vcc_lo, 0, v4
	v_lshrrev_b32_e32 v6, 2, v6
	v_cmp_lt_i32_e64 s1, 5, v11
	v_cmp_eq_u32_e64 s2, 3, v11
	v_cndmask_b32_e64 v4, 0, 1, vcc_lo
	v_cmp_lt_i32_e32 vcc_lo, 5, v10
	v_lshl_or_b32 v2, v2, 9, 0x7c00
	v_lshl_or_b32 v4, v4, 9, 0x7c00
	s_or_b32 vcc_lo, s0, vcc_lo
	v_add_co_ci_u32_e32 v8, vcc_lo, 0, v8, vcc_lo
	s_or_b32 vcc_lo, s2, s1
	v_add_co_ci_u32_e32 v6, vcc_lo, 0, v6, vcc_lo
	v_cmp_gt_i32_e32 vcc_lo, 31, v7
	v_cndmask_b32_e32 v8, 0x7c00, v8, vcc_lo
	v_cmp_gt_i32_e32 vcc_lo, 31, v9
	v_cndmask_b32_e32 v6, 0x7c00, v6, vcc_lo
	v_cmp_eq_u32_e32 vcc_lo, 0x40f, v7
	v_cndmask_b32_e32 v2, v8, v2, vcc_lo
	v_cmp_eq_u32_e32 vcc_lo, 0x40f, v9
	v_and_or_b32 v2, 0x8000, v3, v2
	v_cndmask_b32_e32 v4, v6, v4, vcc_lo
	v_add_co_u32 v0, vcc_lo, v0, s4
	v_add_co_ci_u32_e32 v1, vcc_lo, s3, v1, vcc_lo
	v_and_or_b32 v3, 0x8000, v5, v4
	v_and_b32_e32 v2, 0xffff, v2
	v_lshl_or_b32 v2, v3, 16, v2
	global_store_dword v[0:1], v2, off
	global_load_dword v4, v38, s[8:9] offset:1680
	v_add_nc_u32_e32 v2, 0x400, v38
	ds_read2_b32 v[2:3], v2 offset0:164 offset1:248
	s_waitcnt lgkmcnt(0)
	v_lshrrev_b32_e32 v5, 16, v2
	s_waitcnt vmcnt(0)
	v_mul_f16_sdwa v6, v5, v4 dst_sel:DWORD dst_unused:UNUSED_PAD src0_sel:DWORD src1_sel:WORD_1
	v_mul_f16_sdwa v7, v2, v4 dst_sel:DWORD dst_unused:UNUSED_PAD src0_sel:DWORD src1_sel:WORD_1
	v_fmac_f16_e32 v6, v2, v4
	v_fma_f16 v2, v4, v5, -v7
	v_cvt_f32_f16_e32 v4, v6
	v_cvt_f32_f16_e32 v2, v2
	v_cvt_f64_f32_e32 v[4:5], v4
	v_cvt_f64_f32_e32 v[6:7], v2
	v_mul_f64 v[4:5], v[4:5], s[12:13]
	v_mul_f64 v[6:7], v[6:7], s[12:13]
	v_and_or_b32 v2, 0x1ff, v5, v4
	v_and_or_b32 v6, 0x1ff, v7, v6
	v_lshrrev_b32_e32 v4, 8, v5
	v_bfe_u32 v8, v5, 20, 11
	v_lshrrev_b32_e32 v9, 8, v7
	v_cmp_ne_u32_e32 vcc_lo, 0, v2
	v_bfe_u32 v10, v7, 20, 11
	v_lshrrev_b32_e32 v5, 16, v5
	v_sub_nc_u32_e32 v11, 0x3f1, v8
	v_add_nc_u32_e32 v8, 0xfffffc10, v8
	v_cndmask_b32_e64 v2, 0, 1, vcc_lo
	v_cmp_ne_u32_e32 vcc_lo, 0, v6
	v_lshrrev_b32_e32 v7, 16, v7
	v_and_or_b32 v2, 0xffe, v4, v2
	v_cndmask_b32_e64 v6, 0, 1, vcc_lo
	v_sub_nc_u32_e32 v4, 0x3f1, v10
	v_add_nc_u32_e32 v10, 0xfffffc10, v10
	v_and_or_b32 v6, 0xffe, v9, v6
	v_med3_i32 v9, v11, 0, 13
	v_or_b32_e32 v11, 0x1000, v2
	v_med3_i32 v4, v4, 0, 13
	v_or_b32_e32 v12, 0x1000, v6
	v_lshrrev_b32_e32 v13, v9, v11
	v_lshrrev_b32_e32 v14, v4, v12
	v_lshlrev_b32_e32 v9, v9, v13
	v_lshlrev_b32_e32 v4, v4, v14
	v_cmp_ne_u32_e32 vcc_lo, v9, v11
	v_lshl_or_b32 v11, v8, 12, v2
	v_cndmask_b32_e64 v9, 0, 1, vcc_lo
	v_cmp_ne_u32_e32 vcc_lo, v4, v12
	v_lshl_or_b32 v12, v10, 12, v6
	v_or_b32_e32 v9, v13, v9
	v_cndmask_b32_e64 v4, 0, 1, vcc_lo
	v_cmp_gt_i32_e32 vcc_lo, 1, v8
	v_or_b32_e32 v4, v14, v4
	v_cndmask_b32_e32 v9, v11, v9, vcc_lo
	v_cmp_gt_i32_e32 vcc_lo, 1, v10
	v_and_b32_e32 v11, 7, v9
	v_cndmask_b32_e32 v4, v12, v4, vcc_lo
	v_cmp_ne_u32_e32 vcc_lo, 0, v2
	v_lshrrev_b32_e32 v9, 2, v9
	v_cmp_eq_u32_e64 s0, 3, v11
	v_and_b32_e32 v12, 7, v4
	v_cndmask_b32_e64 v2, 0, 1, vcc_lo
	v_cmp_ne_u32_e32 vcc_lo, 0, v6
	v_lshrrev_b32_e32 v4, 2, v4
	v_cmp_lt_i32_e64 s1, 5, v12
	v_cmp_eq_u32_e64 s2, 3, v12
	v_cndmask_b32_e64 v6, 0, 1, vcc_lo
	v_cmp_lt_i32_e32 vcc_lo, 5, v11
	v_lshl_or_b32 v2, v2, 9, 0x7c00
	v_lshl_or_b32 v6, v6, 9, 0x7c00
	s_or_b32 vcc_lo, s0, vcc_lo
	v_add_co_ci_u32_e32 v9, vcc_lo, 0, v9, vcc_lo
	s_or_b32 vcc_lo, s2, s1
	v_add_co_ci_u32_e32 v4, vcc_lo, 0, v4, vcc_lo
	v_cmp_gt_i32_e32 vcc_lo, 31, v8
	v_cndmask_b32_e32 v9, 0x7c00, v9, vcc_lo
	v_cmp_gt_i32_e32 vcc_lo, 31, v10
	v_cndmask_b32_e32 v4, 0x7c00, v4, vcc_lo
	v_cmp_eq_u32_e32 vcc_lo, 0x40f, v8
	v_cndmask_b32_e32 v2, v9, v2, vcc_lo
	v_cmp_eq_u32_e32 vcc_lo, 0x40f, v10
	v_and_or_b32 v2, 0x8000, v5, v2
	v_cndmask_b32_e32 v4, v4, v6, vcc_lo
	v_add_co_u32 v0, vcc_lo, v0, s4
	v_add_co_ci_u32_e32 v1, vcc_lo, s3, v1, vcc_lo
	v_and_or_b32 v4, 0x8000, v7, v4
	v_and_b32_e32 v2, 0xffff, v2
	v_lshl_or_b32 v2, v4, 16, v2
	v_lshrrev_b32_e32 v4, 16, v3
	global_store_dword v[0:1], v2, off
	global_load_dword v2, v38, s[8:9] offset:2016
	s_waitcnt vmcnt(0)
	v_mul_f16_sdwa v5, v4, v2 dst_sel:DWORD dst_unused:UNUSED_PAD src0_sel:DWORD src1_sel:WORD_1
	v_mul_f16_sdwa v6, v3, v2 dst_sel:DWORD dst_unused:UNUSED_PAD src0_sel:DWORD src1_sel:WORD_1
	v_fmac_f16_e32 v5, v3, v2
	v_fma_f16 v2, v2, v4, -v6
	v_cvt_f32_f16_e32 v3, v5
	v_cvt_f32_f16_e32 v4, v2
	v_cvt_f64_f32_e32 v[2:3], v3
	v_cvt_f64_f32_e32 v[4:5], v4
	v_mul_f64 v[2:3], v[2:3], s[12:13]
	v_mul_f64 v[4:5], v[4:5], s[12:13]
	v_and_or_b32 v2, 0x1ff, v3, v2
	v_and_or_b32 v4, 0x1ff, v5, v4
	v_lshrrev_b32_e32 v6, 8, v3
	v_bfe_u32 v7, v3, 20, 11
	v_lshrrev_b32_e32 v8, 8, v5
	v_cmp_ne_u32_e32 vcc_lo, 0, v2
	v_bfe_u32 v9, v5, 20, 11
	v_lshrrev_b32_e32 v3, 16, v3
	v_sub_nc_u32_e32 v10, 0x3f1, v7
	v_add_nc_u32_e32 v7, 0xfffffc10, v7
	v_cndmask_b32_e64 v2, 0, 1, vcc_lo
	v_cmp_ne_u32_e32 vcc_lo, 0, v4
	v_lshrrev_b32_e32 v5, 16, v5
	v_and_or_b32 v2, 0xffe, v6, v2
	v_cndmask_b32_e64 v4, 0, 1, vcc_lo
	v_sub_nc_u32_e32 v6, 0x3f1, v9
	v_add_nc_u32_e32 v9, 0xfffffc10, v9
	v_and_or_b32 v4, 0xffe, v8, v4
	v_med3_i32 v8, v10, 0, 13
	v_or_b32_e32 v10, 0x1000, v2
	v_med3_i32 v6, v6, 0, 13
	v_or_b32_e32 v11, 0x1000, v4
	v_lshrrev_b32_e32 v12, v8, v10
	v_lshrrev_b32_e32 v13, v6, v11
	v_lshlrev_b32_e32 v8, v8, v12
	v_lshlrev_b32_e32 v6, v6, v13
	v_cmp_ne_u32_e32 vcc_lo, v8, v10
	v_lshl_or_b32 v10, v7, 12, v2
	v_cndmask_b32_e64 v8, 0, 1, vcc_lo
	v_cmp_ne_u32_e32 vcc_lo, v6, v11
	v_lshl_or_b32 v11, v9, 12, v4
	v_or_b32_e32 v8, v12, v8
	v_cndmask_b32_e64 v6, 0, 1, vcc_lo
	v_cmp_gt_i32_e32 vcc_lo, 1, v7
	v_or_b32_e32 v6, v13, v6
	v_cndmask_b32_e32 v8, v10, v8, vcc_lo
	v_cmp_gt_i32_e32 vcc_lo, 1, v9
	v_and_b32_e32 v10, 7, v8
	v_cndmask_b32_e32 v6, v11, v6, vcc_lo
	v_cmp_ne_u32_e32 vcc_lo, 0, v2
	v_lshrrev_b32_e32 v8, 2, v8
	v_cmp_eq_u32_e64 s0, 3, v10
	v_and_b32_e32 v11, 7, v6
	v_cndmask_b32_e64 v2, 0, 1, vcc_lo
	v_cmp_ne_u32_e32 vcc_lo, 0, v4
	v_lshrrev_b32_e32 v6, 2, v6
	v_cmp_lt_i32_e64 s1, 5, v11
	v_cmp_eq_u32_e64 s2, 3, v11
	v_cndmask_b32_e64 v4, 0, 1, vcc_lo
	v_cmp_lt_i32_e32 vcc_lo, 5, v10
	v_lshl_or_b32 v2, v2, 9, 0x7c00
	v_lshl_or_b32 v4, v4, 9, 0x7c00
	s_or_b32 vcc_lo, s0, vcc_lo
	v_add_co_ci_u32_e32 v8, vcc_lo, 0, v8, vcc_lo
	s_or_b32 vcc_lo, s2, s1
	v_add_co_ci_u32_e32 v6, vcc_lo, 0, v6, vcc_lo
	v_cmp_gt_i32_e32 vcc_lo, 31, v7
	v_cndmask_b32_e32 v8, 0x7c00, v8, vcc_lo
	v_cmp_gt_i32_e32 vcc_lo, 31, v9
	v_cndmask_b32_e32 v6, 0x7c00, v6, vcc_lo
	v_cmp_eq_u32_e32 vcc_lo, 0x40f, v7
	v_cndmask_b32_e32 v2, v8, v2, vcc_lo
	v_cmp_eq_u32_e32 vcc_lo, 0x40f, v9
	v_cndmask_b32_e32 v4, v6, v4, vcc_lo
	v_and_or_b32 v6, 0x8000, v3, v2
	v_add_co_u32 v2, s0, s8, v38
	v_add_co_ci_u32_e64 v3, null, s9, 0, s0
	v_and_or_b32 v7, 0x8000, v5, v4
	v_and_b32_e32 v6, 0xffff, v6
	v_add_co_u32 v4, vcc_lo, v0, s4
	v_add_co_ci_u32_e32 v5, vcc_lo, s3, v1, vcc_lo
	v_add_co_u32 v0, vcc_lo, 0x800, v2
	v_lshl_or_b32 v6, v7, 16, v6
	v_add_co_ci_u32_e32 v1, vcc_lo, 0, v3, vcc_lo
	global_store_dword v[4:5], v6, off
	global_load_dword v8, v[0:1], off offset:304
	v_add_nc_u32_e32 v6, 0x800, v38
	ds_read2_b32 v[6:7], v6 offset0:76 offset1:160
	s_waitcnt lgkmcnt(0)
	v_lshrrev_b32_e32 v9, 16, v6
	s_waitcnt vmcnt(0)
	v_mul_f16_sdwa v10, v9, v8 dst_sel:DWORD dst_unused:UNUSED_PAD src0_sel:DWORD src1_sel:WORD_1
	v_mul_f16_sdwa v11, v6, v8 dst_sel:DWORD dst_unused:UNUSED_PAD src0_sel:DWORD src1_sel:WORD_1
	v_fmac_f16_e32 v10, v6, v8
	v_fma_f16 v6, v8, v9, -v11
	v_cvt_f32_f16_e32 v8, v10
	v_cvt_f32_f16_e32 v6, v6
	v_cvt_f64_f32_e32 v[8:9], v8
	v_cvt_f64_f32_e32 v[10:11], v6
	v_mul_f64 v[8:9], v[8:9], s[12:13]
	v_mul_f64 v[10:11], v[10:11], s[12:13]
	v_and_or_b32 v6, 0x1ff, v9, v8
	v_and_or_b32 v10, 0x1ff, v11, v10
	v_lshrrev_b32_e32 v8, 8, v9
	v_bfe_u32 v12, v9, 20, 11
	v_lshrrev_b32_e32 v13, 8, v11
	v_cmp_ne_u32_e32 vcc_lo, 0, v6
	v_bfe_u32 v14, v11, 20, 11
	v_lshrrev_b32_e32 v9, 16, v9
	v_sub_nc_u32_e32 v15, 0x3f1, v12
	v_add_nc_u32_e32 v12, 0xfffffc10, v12
	v_cndmask_b32_e64 v6, 0, 1, vcc_lo
	v_cmp_ne_u32_e32 vcc_lo, 0, v10
	v_lshrrev_b32_e32 v11, 16, v11
	v_and_or_b32 v6, 0xffe, v8, v6
	v_cndmask_b32_e64 v10, 0, 1, vcc_lo
	v_sub_nc_u32_e32 v8, 0x3f1, v14
	v_add_nc_u32_e32 v14, 0xfffffc10, v14
	v_and_or_b32 v10, 0xffe, v13, v10
	v_med3_i32 v13, v15, 0, 13
	v_or_b32_e32 v15, 0x1000, v6
	v_med3_i32 v8, v8, 0, 13
	v_or_b32_e32 v16, 0x1000, v10
	v_lshrrev_b32_e32 v17, v13, v15
	v_lshrrev_b32_e32 v18, v8, v16
	v_lshlrev_b32_e32 v13, v13, v17
	v_lshlrev_b32_e32 v8, v8, v18
	v_cmp_ne_u32_e32 vcc_lo, v13, v15
	v_lshl_or_b32 v15, v12, 12, v6
	v_cndmask_b32_e64 v13, 0, 1, vcc_lo
	v_cmp_ne_u32_e32 vcc_lo, v8, v16
	v_lshl_or_b32 v16, v14, 12, v10
	v_or_b32_e32 v13, v17, v13
	v_cndmask_b32_e64 v8, 0, 1, vcc_lo
	v_cmp_gt_i32_e32 vcc_lo, 1, v12
	v_or_b32_e32 v8, v18, v8
	v_cndmask_b32_e32 v13, v15, v13, vcc_lo
	v_cmp_gt_i32_e32 vcc_lo, 1, v14
	v_and_b32_e32 v15, 7, v13
	v_cndmask_b32_e32 v8, v16, v8, vcc_lo
	v_cmp_ne_u32_e32 vcc_lo, 0, v6
	v_lshrrev_b32_e32 v13, 2, v13
	v_cmp_eq_u32_e64 s0, 3, v15
	v_and_b32_e32 v16, 7, v8
	v_cndmask_b32_e64 v6, 0, 1, vcc_lo
	v_cmp_ne_u32_e32 vcc_lo, 0, v10
	v_lshrrev_b32_e32 v8, 2, v8
	v_cmp_lt_i32_e64 s1, 5, v16
	v_cmp_eq_u32_e64 s2, 3, v16
	v_cndmask_b32_e64 v10, 0, 1, vcc_lo
	v_cmp_lt_i32_e32 vcc_lo, 5, v15
	v_lshl_or_b32 v6, v6, 9, 0x7c00
	v_lshl_or_b32 v10, v10, 9, 0x7c00
	s_or_b32 vcc_lo, s0, vcc_lo
	v_add_co_ci_u32_e32 v13, vcc_lo, 0, v13, vcc_lo
	s_or_b32 vcc_lo, s2, s1
	v_add_co_ci_u32_e32 v8, vcc_lo, 0, v8, vcc_lo
	v_cmp_gt_i32_e32 vcc_lo, 31, v12
	v_cndmask_b32_e32 v13, 0x7c00, v13, vcc_lo
	v_cmp_gt_i32_e32 vcc_lo, 31, v14
	v_cndmask_b32_e32 v8, 0x7c00, v8, vcc_lo
	v_cmp_eq_u32_e32 vcc_lo, 0x40f, v12
	v_cndmask_b32_e32 v6, v13, v6, vcc_lo
	v_cmp_eq_u32_e32 vcc_lo, 0x40f, v14
	v_and_or_b32 v6, 0x8000, v9, v6
	v_cndmask_b32_e32 v8, v8, v10, vcc_lo
	v_add_co_u32 v4, vcc_lo, v4, s4
	v_add_co_ci_u32_e32 v5, vcc_lo, s3, v5, vcc_lo
	v_and_or_b32 v8, 0x8000, v11, v8
	v_and_b32_e32 v6, 0xffff, v6
	v_lshl_or_b32 v6, v8, 16, v6
	v_lshrrev_b32_e32 v8, 16, v7
	global_store_dword v[4:5], v6, off
	global_load_dword v6, v[0:1], off offset:640
	s_waitcnt vmcnt(0)
	v_mul_f16_sdwa v9, v8, v6 dst_sel:DWORD dst_unused:UNUSED_PAD src0_sel:DWORD src1_sel:WORD_1
	v_mul_f16_sdwa v10, v7, v6 dst_sel:DWORD dst_unused:UNUSED_PAD src0_sel:DWORD src1_sel:WORD_1
	v_fmac_f16_e32 v9, v7, v6
	v_fma_f16 v6, v6, v8, -v10
	v_cvt_f32_f16_e32 v7, v9
	v_cvt_f32_f16_e32 v8, v6
	v_cvt_f64_f32_e32 v[6:7], v7
	v_cvt_f64_f32_e32 v[8:9], v8
	v_mul_f64 v[6:7], v[6:7], s[12:13]
	v_mul_f64 v[8:9], v[8:9], s[12:13]
	v_and_or_b32 v6, 0x1ff, v7, v6
	v_and_or_b32 v8, 0x1ff, v9, v8
	v_lshrrev_b32_e32 v10, 8, v7
	v_bfe_u32 v11, v7, 20, 11
	v_lshrrev_b32_e32 v12, 8, v9
	v_cmp_ne_u32_e32 vcc_lo, 0, v6
	v_bfe_u32 v13, v9, 20, 11
	v_lshrrev_b32_e32 v7, 16, v7
	v_sub_nc_u32_e32 v14, 0x3f1, v11
	v_add_nc_u32_e32 v11, 0xfffffc10, v11
	v_cndmask_b32_e64 v6, 0, 1, vcc_lo
	v_cmp_ne_u32_e32 vcc_lo, 0, v8
	v_lshrrev_b32_e32 v9, 16, v9
	v_and_or_b32 v6, 0xffe, v10, v6
	v_cndmask_b32_e64 v8, 0, 1, vcc_lo
	v_sub_nc_u32_e32 v10, 0x3f1, v13
	v_add_nc_u32_e32 v13, 0xfffffc10, v13
	v_and_or_b32 v8, 0xffe, v12, v8
	v_med3_i32 v12, v14, 0, 13
	v_or_b32_e32 v14, 0x1000, v6
	v_med3_i32 v10, v10, 0, 13
	v_or_b32_e32 v15, 0x1000, v8
	v_lshrrev_b32_e32 v16, v12, v14
	v_lshrrev_b32_e32 v17, v10, v15
	v_lshlrev_b32_e32 v12, v12, v16
	v_lshlrev_b32_e32 v10, v10, v17
	v_cmp_ne_u32_e32 vcc_lo, v12, v14
	v_lshl_or_b32 v14, v11, 12, v6
	v_cndmask_b32_e64 v12, 0, 1, vcc_lo
	v_cmp_ne_u32_e32 vcc_lo, v10, v15
	v_lshl_or_b32 v15, v13, 12, v8
	v_or_b32_e32 v12, v16, v12
	v_cndmask_b32_e64 v10, 0, 1, vcc_lo
	v_cmp_gt_i32_e32 vcc_lo, 1, v11
	v_or_b32_e32 v10, v17, v10
	v_cndmask_b32_e32 v12, v14, v12, vcc_lo
	v_cmp_gt_i32_e32 vcc_lo, 1, v13
	v_and_b32_e32 v14, 7, v12
	v_cndmask_b32_e32 v10, v15, v10, vcc_lo
	v_cmp_ne_u32_e32 vcc_lo, 0, v6
	v_lshrrev_b32_e32 v12, 2, v12
	v_cmp_eq_u32_e64 s0, 3, v14
	v_and_b32_e32 v15, 7, v10
	v_cndmask_b32_e64 v6, 0, 1, vcc_lo
	v_cmp_ne_u32_e32 vcc_lo, 0, v8
	v_lshrrev_b32_e32 v10, 2, v10
	v_cmp_lt_i32_e64 s1, 5, v15
	v_cmp_eq_u32_e64 s2, 3, v15
	v_cndmask_b32_e64 v8, 0, 1, vcc_lo
	v_cmp_lt_i32_e32 vcc_lo, 5, v14
	v_lshl_or_b32 v6, v6, 9, 0x7c00
	v_lshl_or_b32 v8, v8, 9, 0x7c00
	s_or_b32 vcc_lo, s0, vcc_lo
	v_add_co_ci_u32_e32 v12, vcc_lo, 0, v12, vcc_lo
	s_or_b32 vcc_lo, s2, s1
	v_add_co_ci_u32_e32 v10, vcc_lo, 0, v10, vcc_lo
	v_cmp_gt_i32_e32 vcc_lo, 31, v11
	v_cndmask_b32_e32 v12, 0x7c00, v12, vcc_lo
	v_cmp_gt_i32_e32 vcc_lo, 31, v13
	v_cndmask_b32_e32 v10, 0x7c00, v10, vcc_lo
	v_cmp_eq_u32_e32 vcc_lo, 0x40f, v11
	v_cndmask_b32_e32 v6, v12, v6, vcc_lo
	v_cmp_eq_u32_e32 vcc_lo, 0x40f, v13
	v_and_or_b32 v6, 0x8000, v7, v6
	v_cndmask_b32_e32 v8, v10, v8, vcc_lo
	v_add_co_u32 v4, vcc_lo, v4, s4
	v_add_co_ci_u32_e32 v5, vcc_lo, s3, v5, vcc_lo
	v_and_or_b32 v7, 0x8000, v9, v8
	v_and_b32_e32 v6, 0xffff, v6
	v_lshl_or_b32 v6, v7, 16, v6
	global_store_dword v[4:5], v6, off
	global_load_dword v8, v[0:1], off offset:976
	v_add_nc_u32_e32 v6, 0xa00, v38
	ds_read2_b32 v[6:7], v6 offset0:116 offset1:200
	s_waitcnt lgkmcnt(0)
	v_lshrrev_b32_e32 v9, 16, v6
	s_waitcnt vmcnt(0)
	v_mul_f16_sdwa v10, v9, v8 dst_sel:DWORD dst_unused:UNUSED_PAD src0_sel:DWORD src1_sel:WORD_1
	v_mul_f16_sdwa v11, v6, v8 dst_sel:DWORD dst_unused:UNUSED_PAD src0_sel:DWORD src1_sel:WORD_1
	v_fmac_f16_e32 v10, v6, v8
	v_fma_f16 v6, v8, v9, -v11
	v_cvt_f32_f16_e32 v8, v10
	v_cvt_f32_f16_e32 v6, v6
	v_cvt_f64_f32_e32 v[8:9], v8
	v_cvt_f64_f32_e32 v[10:11], v6
	v_mul_f64 v[8:9], v[8:9], s[12:13]
	v_mul_f64 v[10:11], v[10:11], s[12:13]
	v_and_or_b32 v6, 0x1ff, v9, v8
	v_and_or_b32 v10, 0x1ff, v11, v10
	v_lshrrev_b32_e32 v8, 8, v9
	v_bfe_u32 v12, v9, 20, 11
	v_lshrrev_b32_e32 v13, 8, v11
	v_cmp_ne_u32_e32 vcc_lo, 0, v6
	v_bfe_u32 v14, v11, 20, 11
	v_lshrrev_b32_e32 v9, 16, v9
	v_sub_nc_u32_e32 v15, 0x3f1, v12
	v_add_nc_u32_e32 v12, 0xfffffc10, v12
	v_cndmask_b32_e64 v6, 0, 1, vcc_lo
	v_cmp_ne_u32_e32 vcc_lo, 0, v10
	v_lshrrev_b32_e32 v11, 16, v11
	v_and_or_b32 v6, 0xffe, v8, v6
	v_cndmask_b32_e64 v10, 0, 1, vcc_lo
	v_sub_nc_u32_e32 v8, 0x3f1, v14
	v_add_nc_u32_e32 v14, 0xfffffc10, v14
	v_and_or_b32 v10, 0xffe, v13, v10
	v_med3_i32 v13, v15, 0, 13
	v_or_b32_e32 v15, 0x1000, v6
	v_med3_i32 v8, v8, 0, 13
	v_or_b32_e32 v16, 0x1000, v10
	v_lshrrev_b32_e32 v17, v13, v15
	v_lshrrev_b32_e32 v18, v8, v16
	v_lshlrev_b32_e32 v13, v13, v17
	v_lshlrev_b32_e32 v8, v8, v18
	v_cmp_ne_u32_e32 vcc_lo, v13, v15
	v_lshl_or_b32 v15, v12, 12, v6
	v_cndmask_b32_e64 v13, 0, 1, vcc_lo
	v_cmp_ne_u32_e32 vcc_lo, v8, v16
	v_lshl_or_b32 v16, v14, 12, v10
	v_or_b32_e32 v13, v17, v13
	v_cndmask_b32_e64 v8, 0, 1, vcc_lo
	v_cmp_gt_i32_e32 vcc_lo, 1, v12
	v_or_b32_e32 v8, v18, v8
	v_cndmask_b32_e32 v13, v15, v13, vcc_lo
	v_cmp_gt_i32_e32 vcc_lo, 1, v14
	v_and_b32_e32 v15, 7, v13
	v_cndmask_b32_e32 v8, v16, v8, vcc_lo
	v_cmp_ne_u32_e32 vcc_lo, 0, v6
	v_lshrrev_b32_e32 v13, 2, v13
	v_cmp_eq_u32_e64 s0, 3, v15
	v_and_b32_e32 v16, 7, v8
	v_cndmask_b32_e64 v6, 0, 1, vcc_lo
	v_cmp_ne_u32_e32 vcc_lo, 0, v10
	v_lshrrev_b32_e32 v8, 2, v8
	v_cmp_lt_i32_e64 s1, 5, v16
	v_cmp_eq_u32_e64 s2, 3, v16
	v_cndmask_b32_e64 v10, 0, 1, vcc_lo
	v_cmp_lt_i32_e32 vcc_lo, 5, v15
	v_lshl_or_b32 v6, v6, 9, 0x7c00
	v_lshl_or_b32 v10, v10, 9, 0x7c00
	s_or_b32 vcc_lo, s0, vcc_lo
	v_add_co_ci_u32_e32 v13, vcc_lo, 0, v13, vcc_lo
	s_or_b32 vcc_lo, s2, s1
	v_add_co_ci_u32_e32 v8, vcc_lo, 0, v8, vcc_lo
	v_cmp_gt_i32_e32 vcc_lo, 31, v12
	v_cndmask_b32_e32 v13, 0x7c00, v13, vcc_lo
	v_cmp_gt_i32_e32 vcc_lo, 31, v14
	v_cndmask_b32_e32 v8, 0x7c00, v8, vcc_lo
	v_cmp_eq_u32_e32 vcc_lo, 0x40f, v12
	v_cndmask_b32_e32 v6, v13, v6, vcc_lo
	v_cmp_eq_u32_e32 vcc_lo, 0x40f, v14
	v_and_or_b32 v6, 0x8000, v9, v6
	v_cndmask_b32_e32 v8, v8, v10, vcc_lo
	v_add_co_u32 v4, vcc_lo, v4, s4
	v_add_co_ci_u32_e32 v5, vcc_lo, s3, v5, vcc_lo
	v_and_or_b32 v8, 0x8000, v11, v8
	v_and_b32_e32 v6, 0xffff, v6
	v_lshl_or_b32 v6, v8, 16, v6
	v_lshrrev_b32_e32 v8, 16, v7
	global_store_dword v[4:5], v6, off
	global_load_dword v6, v[0:1], off offset:1312
	s_waitcnt vmcnt(0)
	v_mul_f16_sdwa v9, v8, v6 dst_sel:DWORD dst_unused:UNUSED_PAD src0_sel:DWORD src1_sel:WORD_1
	v_mul_f16_sdwa v10, v7, v6 dst_sel:DWORD dst_unused:UNUSED_PAD src0_sel:DWORD src1_sel:WORD_1
	v_fmac_f16_e32 v9, v7, v6
	v_fma_f16 v6, v6, v8, -v10
	v_cvt_f32_f16_e32 v7, v9
	v_cvt_f32_f16_e32 v8, v6
	v_cvt_f64_f32_e32 v[6:7], v7
	v_cvt_f64_f32_e32 v[8:9], v8
	v_mul_f64 v[6:7], v[6:7], s[12:13]
	v_mul_f64 v[8:9], v[8:9], s[12:13]
	v_and_or_b32 v6, 0x1ff, v7, v6
	v_and_or_b32 v8, 0x1ff, v9, v8
	v_lshrrev_b32_e32 v10, 8, v7
	v_bfe_u32 v11, v7, 20, 11
	v_lshrrev_b32_e32 v12, 8, v9
	v_cmp_ne_u32_e32 vcc_lo, 0, v6
	v_bfe_u32 v13, v9, 20, 11
	v_lshrrev_b32_e32 v7, 16, v7
	v_sub_nc_u32_e32 v14, 0x3f1, v11
	v_add_nc_u32_e32 v11, 0xfffffc10, v11
	v_cndmask_b32_e64 v6, 0, 1, vcc_lo
	v_cmp_ne_u32_e32 vcc_lo, 0, v8
	v_lshrrev_b32_e32 v9, 16, v9
	v_and_or_b32 v6, 0xffe, v10, v6
	v_cndmask_b32_e64 v8, 0, 1, vcc_lo
	v_sub_nc_u32_e32 v10, 0x3f1, v13
	v_add_nc_u32_e32 v13, 0xfffffc10, v13
	v_and_or_b32 v8, 0xffe, v12, v8
	v_med3_i32 v12, v14, 0, 13
	v_or_b32_e32 v14, 0x1000, v6
	v_med3_i32 v10, v10, 0, 13
	v_or_b32_e32 v15, 0x1000, v8
	v_lshrrev_b32_e32 v16, v12, v14
	v_lshrrev_b32_e32 v17, v10, v15
	v_lshlrev_b32_e32 v12, v12, v16
	v_lshlrev_b32_e32 v10, v10, v17
	v_cmp_ne_u32_e32 vcc_lo, v12, v14
	v_lshl_or_b32 v14, v11, 12, v6
	v_cndmask_b32_e64 v12, 0, 1, vcc_lo
	v_cmp_ne_u32_e32 vcc_lo, v10, v15
	v_lshl_or_b32 v15, v13, 12, v8
	v_or_b32_e32 v12, v16, v12
	v_cndmask_b32_e64 v10, 0, 1, vcc_lo
	v_cmp_gt_i32_e32 vcc_lo, 1, v11
	v_or_b32_e32 v10, v17, v10
	v_cndmask_b32_e32 v12, v14, v12, vcc_lo
	v_cmp_gt_i32_e32 vcc_lo, 1, v13
	v_and_b32_e32 v14, 7, v12
	v_cndmask_b32_e32 v10, v15, v10, vcc_lo
	v_cmp_ne_u32_e32 vcc_lo, 0, v6
	v_lshrrev_b32_e32 v12, 2, v12
	v_cmp_eq_u32_e64 s0, 3, v14
	v_and_b32_e32 v15, 7, v10
	v_cndmask_b32_e64 v6, 0, 1, vcc_lo
	v_cmp_ne_u32_e32 vcc_lo, 0, v8
	v_lshrrev_b32_e32 v10, 2, v10
	v_cmp_lt_i32_e64 s1, 5, v15
	v_cmp_eq_u32_e64 s2, 3, v15
	v_cndmask_b32_e64 v8, 0, 1, vcc_lo
	v_cmp_lt_i32_e32 vcc_lo, 5, v14
	v_lshl_or_b32 v6, v6, 9, 0x7c00
	v_lshl_or_b32 v8, v8, 9, 0x7c00
	s_or_b32 vcc_lo, s0, vcc_lo
	v_add_co_ci_u32_e32 v12, vcc_lo, 0, v12, vcc_lo
	s_or_b32 vcc_lo, s2, s1
	v_add_co_ci_u32_e32 v10, vcc_lo, 0, v10, vcc_lo
	v_cmp_gt_i32_e32 vcc_lo, 31, v11
	v_cndmask_b32_e32 v12, 0x7c00, v12, vcc_lo
	v_cmp_gt_i32_e32 vcc_lo, 31, v13
	v_cndmask_b32_e32 v10, 0x7c00, v10, vcc_lo
	v_cmp_eq_u32_e32 vcc_lo, 0x40f, v11
	v_cndmask_b32_e32 v6, v12, v6, vcc_lo
	v_cmp_eq_u32_e32 vcc_lo, 0x40f, v13
	v_and_or_b32 v6, 0x8000, v7, v6
	v_cndmask_b32_e32 v8, v10, v8, vcc_lo
	v_add_co_u32 v4, vcc_lo, v4, s4
	v_add_co_ci_u32_e32 v5, vcc_lo, s3, v5, vcc_lo
	v_and_or_b32 v7, 0x8000, v9, v8
	v_and_b32_e32 v6, 0xffff, v6
	v_lshl_or_b32 v6, v7, 16, v6
	global_store_dword v[4:5], v6, off
	global_load_dword v8, v[0:1], off offset:1648
	v_add_nc_u32_e32 v6, 0xc00, v38
	ds_read2_b32 v[6:7], v6 offset0:156 offset1:240
	s_waitcnt lgkmcnt(0)
	v_lshrrev_b32_e32 v9, 16, v6
	s_waitcnt vmcnt(0)
	v_mul_f16_sdwa v10, v9, v8 dst_sel:DWORD dst_unused:UNUSED_PAD src0_sel:DWORD src1_sel:WORD_1
	v_mul_f16_sdwa v11, v6, v8 dst_sel:DWORD dst_unused:UNUSED_PAD src0_sel:DWORD src1_sel:WORD_1
	v_fmac_f16_e32 v10, v6, v8
	v_fma_f16 v6, v8, v9, -v11
	v_cvt_f32_f16_e32 v8, v10
	v_cvt_f32_f16_e32 v6, v6
	v_cvt_f64_f32_e32 v[8:9], v8
	v_cvt_f64_f32_e32 v[10:11], v6
	v_mul_f64 v[8:9], v[8:9], s[12:13]
	v_mul_f64 v[10:11], v[10:11], s[12:13]
	v_and_or_b32 v6, 0x1ff, v9, v8
	v_and_or_b32 v10, 0x1ff, v11, v10
	v_lshrrev_b32_e32 v8, 8, v9
	v_bfe_u32 v12, v9, 20, 11
	v_lshrrev_b32_e32 v13, 8, v11
	v_cmp_ne_u32_e32 vcc_lo, 0, v6
	v_bfe_u32 v14, v11, 20, 11
	v_lshrrev_b32_e32 v9, 16, v9
	v_sub_nc_u32_e32 v15, 0x3f1, v12
	v_add_nc_u32_e32 v12, 0xfffffc10, v12
	v_cndmask_b32_e64 v6, 0, 1, vcc_lo
	v_cmp_ne_u32_e32 vcc_lo, 0, v10
	v_lshrrev_b32_e32 v11, 16, v11
	v_and_or_b32 v6, 0xffe, v8, v6
	v_cndmask_b32_e64 v10, 0, 1, vcc_lo
	v_sub_nc_u32_e32 v8, 0x3f1, v14
	v_add_nc_u32_e32 v14, 0xfffffc10, v14
	v_and_or_b32 v10, 0xffe, v13, v10
	v_med3_i32 v13, v15, 0, 13
	v_or_b32_e32 v15, 0x1000, v6
	v_med3_i32 v8, v8, 0, 13
	v_or_b32_e32 v16, 0x1000, v10
	v_lshrrev_b32_e32 v17, v13, v15
	v_lshrrev_b32_e32 v18, v8, v16
	v_lshlrev_b32_e32 v13, v13, v17
	v_lshlrev_b32_e32 v8, v8, v18
	v_cmp_ne_u32_e32 vcc_lo, v13, v15
	v_lshl_or_b32 v15, v12, 12, v6
	v_cndmask_b32_e64 v13, 0, 1, vcc_lo
	v_cmp_ne_u32_e32 vcc_lo, v8, v16
	v_lshl_or_b32 v16, v14, 12, v10
	v_or_b32_e32 v13, v17, v13
	v_cndmask_b32_e64 v8, 0, 1, vcc_lo
	v_cmp_gt_i32_e32 vcc_lo, 1, v12
	v_or_b32_e32 v8, v18, v8
	v_cndmask_b32_e32 v13, v15, v13, vcc_lo
	v_cmp_gt_i32_e32 vcc_lo, 1, v14
	v_and_b32_e32 v15, 7, v13
	v_cndmask_b32_e32 v8, v16, v8, vcc_lo
	v_cmp_ne_u32_e32 vcc_lo, 0, v6
	v_lshrrev_b32_e32 v13, 2, v13
	v_cmp_eq_u32_e64 s0, 3, v15
	v_and_b32_e32 v16, 7, v8
	v_cndmask_b32_e64 v6, 0, 1, vcc_lo
	v_cmp_ne_u32_e32 vcc_lo, 0, v10
	v_lshrrev_b32_e32 v8, 2, v8
	v_cmp_lt_i32_e64 s1, 5, v16
	v_cmp_eq_u32_e64 s2, 3, v16
	v_cndmask_b32_e64 v10, 0, 1, vcc_lo
	v_cmp_lt_i32_e32 vcc_lo, 5, v15
	v_lshl_or_b32 v6, v6, 9, 0x7c00
	v_lshl_or_b32 v10, v10, 9, 0x7c00
	s_or_b32 vcc_lo, s0, vcc_lo
	v_add_co_ci_u32_e32 v13, vcc_lo, 0, v13, vcc_lo
	s_or_b32 vcc_lo, s2, s1
	v_add_co_ci_u32_e32 v8, vcc_lo, 0, v8, vcc_lo
	v_cmp_gt_i32_e32 vcc_lo, 31, v12
	v_cndmask_b32_e32 v13, 0x7c00, v13, vcc_lo
	v_cmp_gt_i32_e32 vcc_lo, 31, v14
	v_cndmask_b32_e32 v8, 0x7c00, v8, vcc_lo
	v_cmp_eq_u32_e32 vcc_lo, 0x40f, v12
	v_cndmask_b32_e32 v6, v13, v6, vcc_lo
	v_cmp_eq_u32_e32 vcc_lo, 0x40f, v14
	v_and_or_b32 v6, 0x8000, v9, v6
	v_cndmask_b32_e32 v8, v8, v10, vcc_lo
	v_add_co_u32 v4, vcc_lo, v4, s4
	v_add_co_ci_u32_e32 v5, vcc_lo, s3, v5, vcc_lo
	v_and_or_b32 v8, 0x8000, v11, v8
	v_and_b32_e32 v6, 0xffff, v6
	v_lshl_or_b32 v6, v8, 16, v6
	global_store_dword v[4:5], v6, off
	global_load_dword v0, v[0:1], off offset:1984
	v_lshrrev_b32_e32 v1, 16, v7
	s_waitcnt vmcnt(0)
	v_mul_f16_sdwa v6, v1, v0 dst_sel:DWORD dst_unused:UNUSED_PAD src0_sel:DWORD src1_sel:WORD_1
	v_mul_f16_sdwa v8, v7, v0 dst_sel:DWORD dst_unused:UNUSED_PAD src0_sel:DWORD src1_sel:WORD_1
	v_fmac_f16_e32 v6, v7, v0
	v_fma_f16 v0, v0, v1, -v8
	v_cvt_f32_f16_e32 v1, v6
	v_cvt_f32_f16_e32 v6, v0
	v_cvt_f64_f32_e32 v[0:1], v1
	v_cvt_f64_f32_e32 v[6:7], v6
	v_mul_f64 v[0:1], v[0:1], s[12:13]
	v_mul_f64 v[6:7], v[6:7], s[12:13]
	v_and_or_b32 v0, 0x1ff, v1, v0
	v_and_or_b32 v6, 0x1ff, v7, v6
	v_lshrrev_b32_e32 v8, 8, v1
	v_bfe_u32 v9, v1, 20, 11
	v_lshrrev_b32_e32 v10, 8, v7
	v_cmp_ne_u32_e32 vcc_lo, 0, v0
	v_bfe_u32 v11, v7, 20, 11
	v_lshrrev_b32_e32 v1, 16, v1
	v_sub_nc_u32_e32 v12, 0x3f1, v9
	v_add_nc_u32_e32 v9, 0xfffffc10, v9
	v_cndmask_b32_e64 v0, 0, 1, vcc_lo
	v_cmp_ne_u32_e32 vcc_lo, 0, v6
	v_lshrrev_b32_e32 v7, 16, v7
	v_and_or_b32 v0, 0xffe, v8, v0
	v_cndmask_b32_e64 v6, 0, 1, vcc_lo
	v_sub_nc_u32_e32 v8, 0x3f1, v11
	v_add_nc_u32_e32 v11, 0xfffffc10, v11
	v_and_or_b32 v6, 0xffe, v10, v6
	v_med3_i32 v10, v12, 0, 13
	v_or_b32_e32 v12, 0x1000, v0
	v_med3_i32 v8, v8, 0, 13
	v_or_b32_e32 v13, 0x1000, v6
	v_lshrrev_b32_e32 v14, v10, v12
	v_lshrrev_b32_e32 v15, v8, v13
	v_lshlrev_b32_e32 v10, v10, v14
	v_lshlrev_b32_e32 v8, v8, v15
	v_cmp_ne_u32_e32 vcc_lo, v10, v12
	v_lshl_or_b32 v12, v9, 12, v0
	v_cndmask_b32_e64 v10, 0, 1, vcc_lo
	v_cmp_ne_u32_e32 vcc_lo, v8, v13
	v_lshl_or_b32 v13, v11, 12, v6
	v_or_b32_e32 v10, v14, v10
	v_cndmask_b32_e64 v8, 0, 1, vcc_lo
	v_cmp_gt_i32_e32 vcc_lo, 1, v9
	v_or_b32_e32 v8, v15, v8
	v_cndmask_b32_e32 v10, v12, v10, vcc_lo
	v_cmp_gt_i32_e32 vcc_lo, 1, v11
	v_and_b32_e32 v12, 7, v10
	v_cndmask_b32_e32 v8, v13, v8, vcc_lo
	v_cmp_ne_u32_e32 vcc_lo, 0, v0
	v_lshrrev_b32_e32 v10, 2, v10
	v_cmp_eq_u32_e64 s0, 3, v12
	v_and_b32_e32 v13, 7, v8
	v_cndmask_b32_e64 v0, 0, 1, vcc_lo
	v_cmp_ne_u32_e32 vcc_lo, 0, v6
	v_lshrrev_b32_e32 v8, 2, v8
	v_cmp_lt_i32_e64 s1, 5, v13
	v_cmp_eq_u32_e64 s2, 3, v13
	v_cndmask_b32_e64 v6, 0, 1, vcc_lo
	v_cmp_lt_i32_e32 vcc_lo, 5, v12
	v_lshl_or_b32 v0, v0, 9, 0x7c00
	v_lshl_or_b32 v6, v6, 9, 0x7c00
	s_or_b32 vcc_lo, s0, vcc_lo
	v_add_co_ci_u32_e32 v10, vcc_lo, 0, v10, vcc_lo
	s_or_b32 vcc_lo, s2, s1
	v_add_co_ci_u32_e32 v8, vcc_lo, 0, v8, vcc_lo
	v_cmp_gt_i32_e32 vcc_lo, 31, v9
	v_cndmask_b32_e32 v10, 0x7c00, v10, vcc_lo
	v_cmp_gt_i32_e32 vcc_lo, 31, v11
	v_cndmask_b32_e32 v8, 0x7c00, v8, vcc_lo
	v_cmp_eq_u32_e32 vcc_lo, 0x40f, v9
	v_cndmask_b32_e32 v0, v10, v0, vcc_lo
	v_cmp_eq_u32_e32 vcc_lo, 0x40f, v11
	v_and_or_b32 v0, 0x8000, v1, v0
	v_cndmask_b32_e32 v6, v8, v6, vcc_lo
	v_and_or_b32 v6, 0x8000, v7, v6
	v_and_b32_e32 v7, 0xffff, v0
	v_add_co_u32 v0, vcc_lo, v4, s4
	v_add_co_ci_u32_e32 v1, vcc_lo, s3, v5, vcc_lo
	v_add_co_u32 v2, vcc_lo, 0x1000, v2
	v_lshl_or_b32 v4, v6, 16, v7
	v_add_co_ci_u32_e32 v3, vcc_lo, 0, v3, vcc_lo
	global_store_dword v[0:1], v4, off
	global_load_dword v6, v[2:3], off offset:272
	v_add_nc_u32_e32 v4, 0x1000, v38
	ds_read2_b32 v[4:5], v4 offset0:68 offset1:152
	s_waitcnt lgkmcnt(0)
	v_lshrrev_b32_e32 v7, 16, v4
	s_waitcnt vmcnt(0)
	v_mul_f16_sdwa v8, v7, v6 dst_sel:DWORD dst_unused:UNUSED_PAD src0_sel:DWORD src1_sel:WORD_1
	v_mul_f16_sdwa v9, v4, v6 dst_sel:DWORD dst_unused:UNUSED_PAD src0_sel:DWORD src1_sel:WORD_1
	v_fmac_f16_e32 v8, v4, v6
	v_fma_f16 v4, v6, v7, -v9
	v_cvt_f32_f16_e32 v6, v8
	v_cvt_f32_f16_e32 v4, v4
	v_cvt_f64_f32_e32 v[6:7], v6
	v_cvt_f64_f32_e32 v[8:9], v4
	v_mul_f64 v[6:7], v[6:7], s[12:13]
	v_mul_f64 v[8:9], v[8:9], s[12:13]
	v_and_or_b32 v4, 0x1ff, v7, v6
	v_and_or_b32 v8, 0x1ff, v9, v8
	v_lshrrev_b32_e32 v6, 8, v7
	v_bfe_u32 v10, v7, 20, 11
	v_lshrrev_b32_e32 v11, 8, v9
	v_cmp_ne_u32_e32 vcc_lo, 0, v4
	v_bfe_u32 v12, v9, 20, 11
	v_lshrrev_b32_e32 v7, 16, v7
	v_sub_nc_u32_e32 v13, 0x3f1, v10
	v_add_nc_u32_e32 v10, 0xfffffc10, v10
	v_cndmask_b32_e64 v4, 0, 1, vcc_lo
	v_cmp_ne_u32_e32 vcc_lo, 0, v8
	v_lshrrev_b32_e32 v9, 16, v9
	v_and_or_b32 v4, 0xffe, v6, v4
	v_cndmask_b32_e64 v8, 0, 1, vcc_lo
	v_sub_nc_u32_e32 v6, 0x3f1, v12
	v_add_nc_u32_e32 v12, 0xfffffc10, v12
	v_and_or_b32 v8, 0xffe, v11, v8
	v_med3_i32 v11, v13, 0, 13
	v_or_b32_e32 v13, 0x1000, v4
	v_med3_i32 v6, v6, 0, 13
	v_or_b32_e32 v14, 0x1000, v8
	v_lshrrev_b32_e32 v15, v11, v13
	v_lshrrev_b32_e32 v16, v6, v14
	v_lshlrev_b32_e32 v11, v11, v15
	v_lshlrev_b32_e32 v6, v6, v16
	v_cmp_ne_u32_e32 vcc_lo, v11, v13
	v_lshl_or_b32 v13, v10, 12, v4
	v_cndmask_b32_e64 v11, 0, 1, vcc_lo
	v_cmp_ne_u32_e32 vcc_lo, v6, v14
	v_lshl_or_b32 v14, v12, 12, v8
	v_or_b32_e32 v11, v15, v11
	v_cndmask_b32_e64 v6, 0, 1, vcc_lo
	v_cmp_gt_i32_e32 vcc_lo, 1, v10
	v_or_b32_e32 v6, v16, v6
	v_cndmask_b32_e32 v11, v13, v11, vcc_lo
	v_cmp_gt_i32_e32 vcc_lo, 1, v12
	v_and_b32_e32 v13, 7, v11
	v_cndmask_b32_e32 v6, v14, v6, vcc_lo
	v_cmp_ne_u32_e32 vcc_lo, 0, v4
	v_lshrrev_b32_e32 v11, 2, v11
	v_cmp_eq_u32_e64 s0, 3, v13
	v_and_b32_e32 v14, 7, v6
	v_cndmask_b32_e64 v4, 0, 1, vcc_lo
	v_cmp_ne_u32_e32 vcc_lo, 0, v8
	v_lshrrev_b32_e32 v6, 2, v6
	v_cmp_lt_i32_e64 s1, 5, v14
	v_cmp_eq_u32_e64 s2, 3, v14
	v_cndmask_b32_e64 v8, 0, 1, vcc_lo
	v_cmp_lt_i32_e32 vcc_lo, 5, v13
	v_lshl_or_b32 v4, v4, 9, 0x7c00
	v_lshl_or_b32 v8, v8, 9, 0x7c00
	s_or_b32 vcc_lo, s0, vcc_lo
	v_add_co_ci_u32_e32 v11, vcc_lo, 0, v11, vcc_lo
	s_or_b32 vcc_lo, s2, s1
	v_add_co_ci_u32_e32 v6, vcc_lo, 0, v6, vcc_lo
	v_cmp_gt_i32_e32 vcc_lo, 31, v10
	v_cndmask_b32_e32 v11, 0x7c00, v11, vcc_lo
	v_cmp_gt_i32_e32 vcc_lo, 31, v12
	v_cndmask_b32_e32 v6, 0x7c00, v6, vcc_lo
	v_cmp_eq_u32_e32 vcc_lo, 0x40f, v10
	v_cndmask_b32_e32 v4, v11, v4, vcc_lo
	v_cmp_eq_u32_e32 vcc_lo, 0x40f, v12
	v_and_or_b32 v4, 0x8000, v7, v4
	v_cndmask_b32_e32 v6, v6, v8, vcc_lo
	v_add_co_u32 v0, vcc_lo, v0, s4
	v_add_co_ci_u32_e32 v1, vcc_lo, s3, v1, vcc_lo
	v_and_or_b32 v6, 0x8000, v9, v6
	v_and_b32_e32 v4, 0xffff, v4
	v_lshl_or_b32 v4, v6, 16, v4
	v_lshrrev_b32_e32 v6, 16, v5
	global_store_dword v[0:1], v4, off
	global_load_dword v4, v[2:3], off offset:608
	s_waitcnt vmcnt(0)
	v_mul_f16_sdwa v7, v6, v4 dst_sel:DWORD dst_unused:UNUSED_PAD src0_sel:DWORD src1_sel:WORD_1
	v_mul_f16_sdwa v8, v5, v4 dst_sel:DWORD dst_unused:UNUSED_PAD src0_sel:DWORD src1_sel:WORD_1
	v_fmac_f16_e32 v7, v5, v4
	v_fma_f16 v4, v4, v6, -v8
	v_cvt_f32_f16_e32 v5, v7
	v_cvt_f32_f16_e32 v6, v4
	v_cvt_f64_f32_e32 v[4:5], v5
	v_cvt_f64_f32_e32 v[6:7], v6
	v_mul_f64 v[4:5], v[4:5], s[12:13]
	v_mul_f64 v[6:7], v[6:7], s[12:13]
	v_and_or_b32 v4, 0x1ff, v5, v4
	v_and_or_b32 v6, 0x1ff, v7, v6
	v_lshrrev_b32_e32 v8, 8, v5
	v_bfe_u32 v9, v5, 20, 11
	v_lshrrev_b32_e32 v10, 8, v7
	v_cmp_ne_u32_e32 vcc_lo, 0, v4
	v_bfe_u32 v11, v7, 20, 11
	v_lshrrev_b32_e32 v5, 16, v5
	v_sub_nc_u32_e32 v12, 0x3f1, v9
	v_add_nc_u32_e32 v9, 0xfffffc10, v9
	v_cndmask_b32_e64 v4, 0, 1, vcc_lo
	v_cmp_ne_u32_e32 vcc_lo, 0, v6
	v_lshrrev_b32_e32 v7, 16, v7
	v_and_or_b32 v4, 0xffe, v8, v4
	v_cndmask_b32_e64 v6, 0, 1, vcc_lo
	v_sub_nc_u32_e32 v8, 0x3f1, v11
	v_add_nc_u32_e32 v11, 0xfffffc10, v11
	v_and_or_b32 v6, 0xffe, v10, v6
	v_med3_i32 v10, v12, 0, 13
	v_or_b32_e32 v12, 0x1000, v4
	v_med3_i32 v8, v8, 0, 13
	v_or_b32_e32 v13, 0x1000, v6
	v_lshrrev_b32_e32 v14, v10, v12
	v_lshrrev_b32_e32 v15, v8, v13
	v_lshlrev_b32_e32 v10, v10, v14
	v_lshlrev_b32_e32 v8, v8, v15
	v_cmp_ne_u32_e32 vcc_lo, v10, v12
	v_lshl_or_b32 v12, v9, 12, v4
	v_cndmask_b32_e64 v10, 0, 1, vcc_lo
	v_cmp_ne_u32_e32 vcc_lo, v8, v13
	v_lshl_or_b32 v13, v11, 12, v6
	v_or_b32_e32 v10, v14, v10
	v_cndmask_b32_e64 v8, 0, 1, vcc_lo
	v_cmp_gt_i32_e32 vcc_lo, 1, v9
	v_or_b32_e32 v8, v15, v8
	v_cndmask_b32_e32 v10, v12, v10, vcc_lo
	v_cmp_gt_i32_e32 vcc_lo, 1, v11
	v_and_b32_e32 v12, 7, v10
	v_cndmask_b32_e32 v8, v13, v8, vcc_lo
	v_cmp_ne_u32_e32 vcc_lo, 0, v4
	v_lshrrev_b32_e32 v10, 2, v10
	v_cmp_eq_u32_e64 s0, 3, v12
	v_and_b32_e32 v13, 7, v8
	v_cndmask_b32_e64 v4, 0, 1, vcc_lo
	v_cmp_ne_u32_e32 vcc_lo, 0, v6
	v_lshrrev_b32_e32 v8, 2, v8
	v_cmp_lt_i32_e64 s1, 5, v13
	v_cmp_eq_u32_e64 s2, 3, v13
	v_cndmask_b32_e64 v6, 0, 1, vcc_lo
	v_cmp_lt_i32_e32 vcc_lo, 5, v12
	v_lshl_or_b32 v4, v4, 9, 0x7c00
	v_lshl_or_b32 v6, v6, 9, 0x7c00
	s_or_b32 vcc_lo, s0, vcc_lo
	v_add_co_ci_u32_e32 v10, vcc_lo, 0, v10, vcc_lo
	s_or_b32 vcc_lo, s2, s1
	v_add_co_ci_u32_e32 v8, vcc_lo, 0, v8, vcc_lo
	v_cmp_gt_i32_e32 vcc_lo, 31, v9
	v_cndmask_b32_e32 v10, 0x7c00, v10, vcc_lo
	v_cmp_gt_i32_e32 vcc_lo, 31, v11
	v_cndmask_b32_e32 v8, 0x7c00, v8, vcc_lo
	v_cmp_eq_u32_e32 vcc_lo, 0x40f, v9
	v_cndmask_b32_e32 v4, v10, v4, vcc_lo
	v_cmp_eq_u32_e32 vcc_lo, 0x40f, v11
	v_and_or_b32 v4, 0x8000, v5, v4
	v_cndmask_b32_e32 v6, v8, v6, vcc_lo
	v_add_co_u32 v0, vcc_lo, v0, s4
	v_add_co_ci_u32_e32 v1, vcc_lo, s3, v1, vcc_lo
	v_and_or_b32 v5, 0x8000, v7, v6
	v_and_b32_e32 v4, 0xffff, v4
	v_lshl_or_b32 v4, v5, 16, v4
	global_store_dword v[0:1], v4, off
	global_load_dword v6, v[2:3], off offset:944
	v_add_nc_u32_e32 v4, 0x1200, v38
	ds_read2_b32 v[4:5], v4 offset0:108 offset1:192
	s_waitcnt lgkmcnt(0)
	v_lshrrev_b32_e32 v7, 16, v4
	s_waitcnt vmcnt(0)
	v_mul_f16_sdwa v8, v7, v6 dst_sel:DWORD dst_unused:UNUSED_PAD src0_sel:DWORD src1_sel:WORD_1
	v_mul_f16_sdwa v9, v4, v6 dst_sel:DWORD dst_unused:UNUSED_PAD src0_sel:DWORD src1_sel:WORD_1
	v_fmac_f16_e32 v8, v4, v6
	v_fma_f16 v4, v6, v7, -v9
	v_cvt_f32_f16_e32 v6, v8
	v_cvt_f32_f16_e32 v4, v4
	v_cvt_f64_f32_e32 v[6:7], v6
	v_cvt_f64_f32_e32 v[8:9], v4
	v_mul_f64 v[6:7], v[6:7], s[12:13]
	v_mul_f64 v[8:9], v[8:9], s[12:13]
	v_and_or_b32 v4, 0x1ff, v7, v6
	v_and_or_b32 v8, 0x1ff, v9, v8
	v_lshrrev_b32_e32 v6, 8, v7
	v_bfe_u32 v10, v7, 20, 11
	v_lshrrev_b32_e32 v11, 8, v9
	v_cmp_ne_u32_e32 vcc_lo, 0, v4
	v_bfe_u32 v12, v9, 20, 11
	v_lshrrev_b32_e32 v7, 16, v7
	v_sub_nc_u32_e32 v13, 0x3f1, v10
	v_add_nc_u32_e32 v10, 0xfffffc10, v10
	v_cndmask_b32_e64 v4, 0, 1, vcc_lo
	v_cmp_ne_u32_e32 vcc_lo, 0, v8
	v_lshrrev_b32_e32 v9, 16, v9
	v_and_or_b32 v4, 0xffe, v6, v4
	v_cndmask_b32_e64 v8, 0, 1, vcc_lo
	v_sub_nc_u32_e32 v6, 0x3f1, v12
	v_add_nc_u32_e32 v12, 0xfffffc10, v12
	v_and_or_b32 v8, 0xffe, v11, v8
	v_med3_i32 v11, v13, 0, 13
	v_or_b32_e32 v13, 0x1000, v4
	v_med3_i32 v6, v6, 0, 13
	v_or_b32_e32 v14, 0x1000, v8
	v_lshrrev_b32_e32 v15, v11, v13
	v_lshrrev_b32_e32 v16, v6, v14
	v_lshlrev_b32_e32 v11, v11, v15
	v_lshlrev_b32_e32 v6, v6, v16
	v_cmp_ne_u32_e32 vcc_lo, v11, v13
	v_lshl_or_b32 v13, v10, 12, v4
	v_cndmask_b32_e64 v11, 0, 1, vcc_lo
	v_cmp_ne_u32_e32 vcc_lo, v6, v14
	v_lshl_or_b32 v14, v12, 12, v8
	v_or_b32_e32 v11, v15, v11
	v_cndmask_b32_e64 v6, 0, 1, vcc_lo
	v_cmp_gt_i32_e32 vcc_lo, 1, v10
	v_or_b32_e32 v6, v16, v6
	v_cndmask_b32_e32 v11, v13, v11, vcc_lo
	v_cmp_gt_i32_e32 vcc_lo, 1, v12
	v_and_b32_e32 v13, 7, v11
	v_cndmask_b32_e32 v6, v14, v6, vcc_lo
	v_cmp_ne_u32_e32 vcc_lo, 0, v4
	v_lshrrev_b32_e32 v11, 2, v11
	v_cmp_eq_u32_e64 s0, 3, v13
	v_and_b32_e32 v14, 7, v6
	v_cndmask_b32_e64 v4, 0, 1, vcc_lo
	v_cmp_ne_u32_e32 vcc_lo, 0, v8
	v_lshrrev_b32_e32 v6, 2, v6
	v_cmp_lt_i32_e64 s1, 5, v14
	v_cmp_eq_u32_e64 s2, 3, v14
	v_cndmask_b32_e64 v8, 0, 1, vcc_lo
	v_cmp_lt_i32_e32 vcc_lo, 5, v13
	v_lshl_or_b32 v4, v4, 9, 0x7c00
	v_lshl_or_b32 v8, v8, 9, 0x7c00
	s_or_b32 vcc_lo, s0, vcc_lo
	v_add_co_ci_u32_e32 v11, vcc_lo, 0, v11, vcc_lo
	s_or_b32 vcc_lo, s2, s1
	v_add_co_ci_u32_e32 v6, vcc_lo, 0, v6, vcc_lo
	v_cmp_gt_i32_e32 vcc_lo, 31, v10
	v_cndmask_b32_e32 v11, 0x7c00, v11, vcc_lo
	v_cmp_gt_i32_e32 vcc_lo, 31, v12
	v_cndmask_b32_e32 v6, 0x7c00, v6, vcc_lo
	v_cmp_eq_u32_e32 vcc_lo, 0x40f, v10
	v_cndmask_b32_e32 v4, v11, v4, vcc_lo
	v_cmp_eq_u32_e32 vcc_lo, 0x40f, v12
	v_and_or_b32 v4, 0x8000, v7, v4
	v_cndmask_b32_e32 v6, v6, v8, vcc_lo
	v_add_co_u32 v0, vcc_lo, v0, s4
	v_add_co_ci_u32_e32 v1, vcc_lo, s3, v1, vcc_lo
	v_and_or_b32 v6, 0x8000, v9, v6
	v_and_b32_e32 v4, 0xffff, v4
	v_lshl_or_b32 v4, v6, 16, v4
	global_store_dword v[0:1], v4, off
	global_load_dword v2, v[2:3], off offset:1280
	v_lshrrev_b32_e32 v3, 16, v5
	s_waitcnt vmcnt(0)
	v_mul_f16_sdwa v4, v3, v2 dst_sel:DWORD dst_unused:UNUSED_PAD src0_sel:DWORD src1_sel:WORD_1
	v_mul_f16_sdwa v6, v5, v2 dst_sel:DWORD dst_unused:UNUSED_PAD src0_sel:DWORD src1_sel:WORD_1
	v_fmac_f16_e32 v4, v5, v2
	v_fma_f16 v2, v2, v3, -v6
	v_cvt_f32_f16_e32 v3, v4
	v_cvt_f32_f16_e32 v4, v2
	v_cvt_f64_f32_e32 v[2:3], v3
	v_cvt_f64_f32_e32 v[4:5], v4
	v_mul_f64 v[2:3], v[2:3], s[12:13]
	v_mul_f64 v[4:5], v[4:5], s[12:13]
	v_and_or_b32 v2, 0x1ff, v3, v2
	v_and_or_b32 v4, 0x1ff, v5, v4
	v_lshrrev_b32_e32 v6, 8, v3
	v_bfe_u32 v7, v3, 20, 11
	v_lshrrev_b32_e32 v8, 8, v5
	v_cmp_ne_u32_e32 vcc_lo, 0, v2
	v_bfe_u32 v9, v5, 20, 11
	v_lshrrev_b32_e32 v3, 16, v3
	v_sub_nc_u32_e32 v10, 0x3f1, v7
	v_add_nc_u32_e32 v7, 0xfffffc10, v7
	v_cndmask_b32_e64 v2, 0, 1, vcc_lo
	v_cmp_ne_u32_e32 vcc_lo, 0, v4
	v_lshrrev_b32_e32 v5, 16, v5
	v_and_or_b32 v2, 0xffe, v6, v2
	v_cndmask_b32_e64 v4, 0, 1, vcc_lo
	v_sub_nc_u32_e32 v6, 0x3f1, v9
	v_add_nc_u32_e32 v9, 0xfffffc10, v9
	v_and_or_b32 v4, 0xffe, v8, v4
	v_med3_i32 v8, v10, 0, 13
	v_or_b32_e32 v10, 0x1000, v2
	v_med3_i32 v6, v6, 0, 13
	v_or_b32_e32 v11, 0x1000, v4
	v_lshrrev_b32_e32 v12, v8, v10
	v_lshrrev_b32_e32 v13, v6, v11
	v_lshlrev_b32_e32 v8, v8, v12
	v_lshlrev_b32_e32 v6, v6, v13
	v_cmp_ne_u32_e32 vcc_lo, v8, v10
	v_lshl_or_b32 v10, v7, 12, v2
	v_cndmask_b32_e64 v8, 0, 1, vcc_lo
	v_cmp_ne_u32_e32 vcc_lo, v6, v11
	v_lshl_or_b32 v11, v9, 12, v4
	v_or_b32_e32 v8, v12, v8
	v_cndmask_b32_e64 v6, 0, 1, vcc_lo
	v_cmp_gt_i32_e32 vcc_lo, 1, v7
	v_or_b32_e32 v6, v13, v6
	v_cndmask_b32_e32 v8, v10, v8, vcc_lo
	v_cmp_gt_i32_e32 vcc_lo, 1, v9
	v_and_b32_e32 v10, 7, v8
	v_cndmask_b32_e32 v6, v11, v6, vcc_lo
	v_cmp_ne_u32_e32 vcc_lo, 0, v2
	v_lshrrev_b32_e32 v8, 2, v8
	v_cmp_eq_u32_e64 s0, 3, v10
	v_and_b32_e32 v11, 7, v6
	v_cndmask_b32_e64 v2, 0, 1, vcc_lo
	v_cmp_ne_u32_e32 vcc_lo, 0, v4
	v_lshrrev_b32_e32 v6, 2, v6
	v_cmp_lt_i32_e64 s1, 5, v11
	v_cmp_eq_u32_e64 s2, 3, v11
	v_cndmask_b32_e64 v4, 0, 1, vcc_lo
	v_cmp_lt_i32_e32 vcc_lo, 5, v10
	v_lshl_or_b32 v2, v2, 9, 0x7c00
	v_lshl_or_b32 v4, v4, 9, 0x7c00
	s_or_b32 vcc_lo, s0, vcc_lo
	v_add_co_ci_u32_e32 v8, vcc_lo, 0, v8, vcc_lo
	s_or_b32 vcc_lo, s2, s1
	v_add_co_ci_u32_e32 v6, vcc_lo, 0, v6, vcc_lo
	v_cmp_gt_i32_e32 vcc_lo, 31, v7
	v_cndmask_b32_e32 v8, 0x7c00, v8, vcc_lo
	v_cmp_gt_i32_e32 vcc_lo, 31, v9
	v_cndmask_b32_e32 v6, 0x7c00, v6, vcc_lo
	v_cmp_eq_u32_e32 vcc_lo, 0x40f, v7
	v_cndmask_b32_e32 v2, v8, v2, vcc_lo
	v_cmp_eq_u32_e32 vcc_lo, 0x40f, v9
	v_and_or_b32 v2, 0x8000, v3, v2
	v_cndmask_b32_e32 v4, v6, v4, vcc_lo
	v_add_co_u32 v0, vcc_lo, v0, s4
	v_add_co_ci_u32_e32 v1, vcc_lo, s3, v1, vcc_lo
	v_and_or_b32 v3, 0x8000, v5, v4
	v_and_b32_e32 v2, 0xffff, v2
	v_lshl_or_b32 v2, v3, 16, v2
	global_store_dword v[0:1], v2, off
.LBB0_23:
	s_endpgm
	.section	.rodata,"a",@progbits
	.p2align	6, 0x0
	.amdhsa_kernel bluestein_single_fwd_len1428_dim1_half_op_CI_CI
		.amdhsa_group_segment_fixed_size 5712
		.amdhsa_private_segment_fixed_size 0
		.amdhsa_kernarg_size 104
		.amdhsa_user_sgpr_count 6
		.amdhsa_user_sgpr_private_segment_buffer 1
		.amdhsa_user_sgpr_dispatch_ptr 0
		.amdhsa_user_sgpr_queue_ptr 0
		.amdhsa_user_sgpr_kernarg_segment_ptr 1
		.amdhsa_user_sgpr_dispatch_id 0
		.amdhsa_user_sgpr_flat_scratch_init 0
		.amdhsa_user_sgpr_private_segment_size 0
		.amdhsa_wavefront_size32 1
		.amdhsa_uses_dynamic_stack 0
		.amdhsa_system_sgpr_private_segment_wavefront_offset 0
		.amdhsa_system_sgpr_workgroup_id_x 1
		.amdhsa_system_sgpr_workgroup_id_y 0
		.amdhsa_system_sgpr_workgroup_id_z 0
		.amdhsa_system_sgpr_workgroup_info 0
		.amdhsa_system_vgpr_workitem_id 0
		.amdhsa_next_free_vgpr 222
		.amdhsa_next_free_sgpr 16
		.amdhsa_reserve_vcc 1
		.amdhsa_reserve_flat_scratch 0
		.amdhsa_float_round_mode_32 0
		.amdhsa_float_round_mode_16_64 0
		.amdhsa_float_denorm_mode_32 3
		.amdhsa_float_denorm_mode_16_64 3
		.amdhsa_dx10_clamp 1
		.amdhsa_ieee_mode 1
		.amdhsa_fp16_overflow 0
		.amdhsa_workgroup_processor_mode 1
		.amdhsa_memory_ordered 1
		.amdhsa_forward_progress 0
		.amdhsa_shared_vgpr_count 0
		.amdhsa_exception_fp_ieee_invalid_op 0
		.amdhsa_exception_fp_denorm_src 0
		.amdhsa_exception_fp_ieee_div_zero 0
		.amdhsa_exception_fp_ieee_overflow 0
		.amdhsa_exception_fp_ieee_underflow 0
		.amdhsa_exception_fp_ieee_inexact 0
		.amdhsa_exception_int_div_zero 0
	.end_amdhsa_kernel
	.text
.Lfunc_end0:
	.size	bluestein_single_fwd_len1428_dim1_half_op_CI_CI, .Lfunc_end0-bluestein_single_fwd_len1428_dim1_half_op_CI_CI
                                        ; -- End function
	.section	.AMDGPU.csdata,"",@progbits
; Kernel info:
; codeLenInByte = 30864
; NumSgprs: 18
; NumVgprs: 222
; ScratchSize: 0
; MemoryBound: 0
; FloatMode: 240
; IeeeMode: 1
; LDSByteSize: 5712 bytes/workgroup (compile time only)
; SGPRBlocks: 2
; VGPRBlocks: 27
; NumSGPRsForWavesPerEU: 18
; NumVGPRsForWavesPerEU: 222
; Occupancy: 4
; WaveLimiterHint : 1
; COMPUTE_PGM_RSRC2:SCRATCH_EN: 0
; COMPUTE_PGM_RSRC2:USER_SGPR: 6
; COMPUTE_PGM_RSRC2:TRAP_HANDLER: 0
; COMPUTE_PGM_RSRC2:TGID_X_EN: 1
; COMPUTE_PGM_RSRC2:TGID_Y_EN: 0
; COMPUTE_PGM_RSRC2:TGID_Z_EN: 0
; COMPUTE_PGM_RSRC2:TIDIG_COMP_CNT: 0
	.text
	.p2alignl 6, 3214868480
	.fill 48, 4, 3214868480
	.type	__hip_cuid_9251dff11e677d00,@object ; @__hip_cuid_9251dff11e677d00
	.section	.bss,"aw",@nobits
	.globl	__hip_cuid_9251dff11e677d00
__hip_cuid_9251dff11e677d00:
	.byte	0                               ; 0x0
	.size	__hip_cuid_9251dff11e677d00, 1

	.ident	"AMD clang version 19.0.0git (https://github.com/RadeonOpenCompute/llvm-project roc-6.4.0 25133 c7fe45cf4b819c5991fe208aaa96edf142730f1d)"
	.section	".note.GNU-stack","",@progbits
	.addrsig
	.addrsig_sym __hip_cuid_9251dff11e677d00
	.amdgpu_metadata
---
amdhsa.kernels:
  - .args:
      - .actual_access:  read_only
        .address_space:  global
        .offset:         0
        .size:           8
        .value_kind:     global_buffer
      - .actual_access:  read_only
        .address_space:  global
        .offset:         8
        .size:           8
        .value_kind:     global_buffer
      - .actual_access:  read_only
        .address_space:  global
        .offset:         16
        .size:           8
        .value_kind:     global_buffer
      - .actual_access:  read_only
        .address_space:  global
        .offset:         24
        .size:           8
        .value_kind:     global_buffer
      - .actual_access:  read_only
        .address_space:  global
        .offset:         32
        .size:           8
        .value_kind:     global_buffer
      - .offset:         40
        .size:           8
        .value_kind:     by_value
      - .address_space:  global
        .offset:         48
        .size:           8
        .value_kind:     global_buffer
      - .address_space:  global
        .offset:         56
        .size:           8
        .value_kind:     global_buffer
      - .address_space:  global
        .offset:         64
        .size:           8
        .value_kind:     global_buffer
      - .address_space:  global
        .offset:         72
        .size:           8
        .value_kind:     global_buffer
      - .offset:         80
        .size:           4
        .value_kind:     by_value
      - .address_space:  global
        .offset:         88
        .size:           8
        .value_kind:     global_buffer
      - .address_space:  global
        .offset:         96
        .size:           8
        .value_kind:     global_buffer
    .group_segment_fixed_size: 5712
    .kernarg_segment_align: 8
    .kernarg_segment_size: 104
    .language:       OpenCL C
    .language_version:
      - 2
      - 0
    .max_flat_workgroup_size: 119
    .name:           bluestein_single_fwd_len1428_dim1_half_op_CI_CI
    .private_segment_fixed_size: 0
    .sgpr_count:     18
    .sgpr_spill_count: 0
    .symbol:         bluestein_single_fwd_len1428_dim1_half_op_CI_CI.kd
    .uniform_work_group_size: 1
    .uses_dynamic_stack: false
    .vgpr_count:     222
    .vgpr_spill_count: 0
    .wavefront_size: 32
    .workgroup_processor_mode: 1
amdhsa.target:   amdgcn-amd-amdhsa--gfx1030
amdhsa.version:
  - 1
  - 2
...

	.end_amdgpu_metadata
